;; amdgpu-corpus repo=ROCm/hip-tests kind=compiled arch=gfx90a opt=O3
	.text
	.amdgcn_target "amdgcn-amd-amdhsa--gfx90a"
	.amdhsa_code_object_version 6
	.protected	_Z14kernel_shfl_upPiS_iii ; -- Begin function _Z14kernel_shfl_upPiS_iii
	.globl	_Z14kernel_shfl_upPiS_iii
	.p2align	8
	.type	_Z14kernel_shfl_upPiS_iii,@function
_Z14kernel_shfl_upPiS_iii:              ; @_Z14kernel_shfl_upPiS_iii
; %bb.0:
	s_load_dwordx4 s[0:3], s[4:5], 0x10
	s_waitcnt lgkmcnt(0)
	s_load_dword s3, s[4:5], 0x2c
	s_abs_i32 s1, s1
	v_cvt_f32_u32_e32 v1, s1
	s_waitcnt lgkmcnt(0)
	s_and_b32 s3, s3, 0xffff
	s_mul_i32 s6, s6, s3
	v_add_u32_e32 v0, s6, v0
	v_rcp_iflag_f32_e32 v1, v1
	s_sub_i32 s3, 0, s1
	v_sub_u32_e32 v3, 0, v0
	v_ashrrev_i32_e32 v2, 31, v0
	v_mul_f32_e32 v1, 0x4f7ffffe, v1
	v_cvt_u32_f32_e32 v1, v1
	v_max_i32_e32 v0, v0, v3
	v_mul_lo_u32 v3, s3, v1
	v_mul_hi_u32 v3, v1, v3
	v_add_u32_e32 v1, v1, v3
	v_mul_hi_u32 v1, v0, v1
	v_mul_lo_u32 v1, v1, s1
	v_sub_u32_e32 v0, v0, v1
	v_subrev_u32_e32 v1, s1, v0
	v_cmp_le_u32_e32 vcc, s1, v0
	v_cndmask_b32_e32 v0, v0, v1, vcc
	v_subrev_u32_e32 v1, s1, v0
	v_cmp_le_u32_e32 vcc, s1, v0
	v_cndmask_b32_e32 v0, v0, v1, vcc
	v_xor_b32_e32 v0, v0, v2
	v_sub_u32_e32 v0, v0, v2
	v_cmp_eq_u32_e32 vcc, 0, v0
	s_and_saveexec_b64 s[6:7], vcc
	s_cbranch_execz .LBB0_15
; %bb.1:
	s_mov_b64 s[8:9], exec
	v_mbcnt_lo_u32_b32 v0, s8, 0
	v_mbcnt_hi_u32_b32 v0, s9, v0
	v_cmp_gt_i32_e32 vcc, s2, v0
	s_and_b64 s[2:3], exec, vcc
	s_mov_b64 exec, s[2:3]
	s_cbranch_execz .LBB0_15
; %bb.2:
	s_load_dwordx4 s[4:7], s[4:5], 0x0
	v_lshlrev_b32_e32 v2, 2, v0
	v_mbcnt_lo_u32_b32 v0, -1, 0
	s_mov_b64 s[2:3], -1
	s_cmp_lg_u64 s[8:9], -1
	s_waitcnt lgkmcnt(0)
	global_load_dword v3, v2, s[4:5]
	v_mbcnt_hi_u32_b32 v4, -1, v0
	s_cbranch_scc0 .LBB0_7
; %bb.3:
	v_add_co_u32_e64 v0, s[2:3], s0, 1
	s_andn2_b64 vcc, exec, s[2:3]
	s_cbranch_vccz .LBB0_8
; %bb.4:
	s_not_b32 s1, s0
	s_cmp_lt_i32 s0, 0
	v_mov_b32_e32 v5, s1
	v_mov_b32_e32 v6, v4
	s_mov_b64 s[2:3], s[8:9]
	s_cbranch_scc1 .LBB0_6
; %bb.5:
	v_sub_u32_e32 v6, 63, v4
	s_brev_b64 s[2:3], s[8:9]
	v_mov_b32_e32 v5, v0
.LBB0_6:
	v_pk_mov_b32 v[0:1], s[2:3], s[2:3] op_sel:[0,1]
	s_cbranch_execz .LBB0_9
	s_branch .LBB0_10
.LBB0_7:
                                        ; implicit-def: $vgpr0
	s_and_b64 vcc, exec, s[2:3]
	s_cbranch_vccnz .LBB0_13
	s_branch .LBB0_14
.LBB0_8:
                                        ; implicit-def: $vgpr6
                                        ; implicit-def: $vgpr5
                                        ; implicit-def: $sgpr2_sgpr3
	v_pk_mov_b32 v[0:1], s[2:3], s[2:3] op_sel:[0,1]
.LBB0_9:
	v_lshlrev_b32_e64 v0, v4, 1
	v_ashrrev_i32_e32 v1, 31, v0
	v_and_b32_e32 v1, s9, v1
	v_and_b32_e32 v0, s8, v0
	v_mov_b32_e32 v5, 1
	v_mov_b32_e32 v6, v4
.LBB0_10:
	v_lshlrev_b64 v[6:7], v6, -1
	v_and_b32_e32 v0, v6, v0
	v_and_b32_e32 v1, v7, v1
	v_bcnt_u32_b32 v6, v0, 0
	v_bcnt_u32_b32 v6, v1, v6
	v_cmp_le_u32_e32 vcc, v5, v6
	v_mov_b32_e32 v6, -1
	s_and_saveexec_b64 s[2:3], vcc
	s_cbranch_execz .LBB0_12
; %bb.11:
	v_bcnt_u32_b32 v6, v0, 0
	v_cmp_gt_u32_e32 vcc, v5, v6
	v_cndmask_b32_e32 v0, v0, v1, vcc
	v_cndmask_b32_e32 v1, 0, v6, vcc
	v_and_b32_e32 v6, 0xffff, v0
	v_sub_u32_e32 v1, v5, v1
	v_bcnt_u32_b32 v7, v6, 0
	v_cndmask_b32_e64 v5, 0, 1, vcc
	v_lshrrev_b32_e32 v0, 16, v0
	v_cmp_gt_i32_e32 vcc, v1, v7
	v_cndmask_b32_e32 v0, v6, v0, vcc
	v_cndmask_b32_e32 v6, 0, v7, vcc
	v_lshlrev_b32_e32 v5, 5, v5
	v_sub_u32_e32 v1, v1, v6
	v_cndmask_b32_e64 v6, 0, 1, vcc
	v_lshl_or_b32 v5, v6, 4, v5
	v_and_b32_e32 v6, 0xff, v0
	v_bcnt_u32_b32 v7, v6, 0
	v_lshrrev_b32_e32 v0, 8, v0
	v_cmp_gt_i32_e32 vcc, v1, v7
	v_cndmask_b32_e32 v0, v6, v0, vcc
	v_cndmask_b32_e32 v6, 0, v7, vcc
	v_and_b32_e32 v7, 15, v0
	v_sub_u32_e32 v1, v1, v6
	v_bcnt_u32_b32 v8, v7, 0
	v_cndmask_b32_e64 v6, 0, 1, vcc
	v_lshrrev_b32_e32 v0, 4, v0
	v_cmp_gt_i32_e32 vcc, v1, v8
	v_cndmask_b32_e32 v0, v7, v0, vcc
	v_cndmask_b32_e32 v7, 0, v8, vcc
	v_sub_u32_e32 v1, v1, v7
	v_cndmask_b32_e64 v7, 0, 1, vcc
	v_lshlrev_b32_e32 v6, 3, v6
	v_lshlrev_b32_e32 v7, 2, v7
	v_or3_b32 v5, v5, v6, v7
	v_and_b32_e32 v6, 3, v0
	v_bcnt_u32_b32 v6, v6, 0
	v_lshrrev_b32_e32 v7, 2, v0
	v_cmp_gt_i32_e32 vcc, v1, v6
	v_cndmask_b32_e32 v6, 0, v6, vcc
	v_cndmask_b32_e32 v0, v0, v7, vcc
	v_sub_u32_e32 v1, v1, v6
	v_and_b32_e32 v0, 1, v0
	v_cndmask_b32_e64 v6, 0, 1, vcc
	v_cmp_gt_i32_e32 vcc, v1, v0
	v_lshlrev_b32_e32 v6, 1, v6
	v_cndmask_b32_e64 v0, 0, 1, vcc
	v_or3_b32 v0, v5, v6, v0
	s_cmp_lt_i32 s0, 0
	v_xor_b32_e32 v1, 63, v0
	s_cselect_b64 vcc, -1, 0
	v_cndmask_b32_e32 v6, v1, v0, vcc
.LBB0_12:
	s_or_b64 exec, exec, s[2:3]
	v_cmp_eq_u32_e32 vcc, -1, v6
	v_cndmask_b32_e32 v0, v6, v4, vcc
	v_and_b32_e32 v1, 64, v4
	v_and_or_b32 v0, v0, 63, v1
	v_lshlrev_b32_e32 v0, 2, v0
	s_waitcnt vmcnt(0)
	ds_bpermute_b32 v0, v0, v3
	s_branch .LBB0_14
.LBB0_13:
	s_waitcnt lgkmcnt(0)
	v_subrev_u32_e32 v0, s0, v4
	v_and_b32_e32 v1, 64, v4
	v_cmp_lt_i32_e32 vcc, v0, v1
	v_cndmask_b32_e32 v0, v0, v4, vcc
	v_lshlrev_b32_e32 v0, 2, v0
	s_waitcnt vmcnt(0)
	ds_bpermute_b32 v0, v0, v3
.LBB0_14:
	s_waitcnt lgkmcnt(0)
	global_store_dword v2, v0, s[6:7]
.LBB0_15:
	s_endpgm
	.section	.rodata,"a",@progbits
	.p2align	6, 0x0
	.amdhsa_kernel _Z14kernel_shfl_upPiS_iii
		.amdhsa_group_segment_fixed_size 0
		.amdhsa_private_segment_fixed_size 0
		.amdhsa_kernarg_size 288
		.amdhsa_user_sgpr_count 6
		.amdhsa_user_sgpr_private_segment_buffer 1
		.amdhsa_user_sgpr_dispatch_ptr 0
		.amdhsa_user_sgpr_queue_ptr 0
		.amdhsa_user_sgpr_kernarg_segment_ptr 1
		.amdhsa_user_sgpr_dispatch_id 0
		.amdhsa_user_sgpr_flat_scratch_init 0
		.amdhsa_user_sgpr_kernarg_preload_length 0
		.amdhsa_user_sgpr_kernarg_preload_offset 0
		.amdhsa_user_sgpr_private_segment_size 0
		.amdhsa_uses_dynamic_stack 0
		.amdhsa_system_sgpr_private_segment_wavefront_offset 0
		.amdhsa_system_sgpr_workgroup_id_x 1
		.amdhsa_system_sgpr_workgroup_id_y 0
		.amdhsa_system_sgpr_workgroup_id_z 0
		.amdhsa_system_sgpr_workgroup_info 0
		.amdhsa_system_vgpr_workitem_id 0
		.amdhsa_next_free_vgpr 9
		.amdhsa_next_free_sgpr 10
		.amdhsa_accum_offset 12
		.amdhsa_reserve_vcc 1
		.amdhsa_reserve_flat_scratch 0
		.amdhsa_float_round_mode_32 0
		.amdhsa_float_round_mode_16_64 0
		.amdhsa_float_denorm_mode_32 3
		.amdhsa_float_denorm_mode_16_64 3
		.amdhsa_dx10_clamp 1
		.amdhsa_ieee_mode 1
		.amdhsa_fp16_overflow 0
		.amdhsa_tg_split 0
		.amdhsa_exception_fp_ieee_invalid_op 0
		.amdhsa_exception_fp_denorm_src 0
		.amdhsa_exception_fp_ieee_div_zero 0
		.amdhsa_exception_fp_ieee_overflow 0
		.amdhsa_exception_fp_ieee_underflow 0
		.amdhsa_exception_fp_ieee_inexact 0
		.amdhsa_exception_int_div_zero 0
	.end_amdhsa_kernel
	.text
.Lfunc_end0:
	.size	_Z14kernel_shfl_upPiS_iii, .Lfunc_end0-_Z14kernel_shfl_upPiS_iii
                                        ; -- End function
	.section	.AMDGPU.csdata,"",@progbits
; Kernel info:
; codeLenInByte = 784
; NumSgprs: 14
; NumVgprs: 9
; NumAgprs: 0
; TotalNumVgprs: 9
; ScratchSize: 0
; MemoryBound: 0
; FloatMode: 240
; IeeeMode: 1
; LDSByteSize: 0 bytes/workgroup (compile time only)
; SGPRBlocks: 1
; VGPRBlocks: 1
; NumSGPRsForWavesPerEU: 14
; NumVGPRsForWavesPerEU: 9
; AccumOffset: 12
; Occupancy: 8
; WaveLimiterHint : 0
; COMPUTE_PGM_RSRC2:SCRATCH_EN: 0
; COMPUTE_PGM_RSRC2:USER_SGPR: 6
; COMPUTE_PGM_RSRC2:TRAP_HANDLER: 0
; COMPUTE_PGM_RSRC2:TGID_X_EN: 1
; COMPUTE_PGM_RSRC2:TGID_Y_EN: 0
; COMPUTE_PGM_RSRC2:TGID_Z_EN: 0
; COMPUTE_PGM_RSRC2:TIDIG_COMP_CNT: 0
; COMPUTE_PGM_RSRC3_GFX90A:ACCUM_OFFSET: 2
; COMPUTE_PGM_RSRC3_GFX90A:TG_SPLIT: 0
	.text
	.protected	_Z33kernel_cg_group_partition_shfl_upPiji ; -- Begin function _Z33kernel_cg_group_partition_shfl_upPiji
	.globl	_Z33kernel_cg_group_partition_shfl_upPiji
	.p2align	8
	.type	_Z33kernel_cg_group_partition_shfl_upPiji,@function
_Z33kernel_cg_group_partition_shfl_upPiji: ; @_Z33kernel_cg_group_partition_shfl_upPiji
; %bb.0:
	s_load_dwordx2 s[2:3], s[4:5], 0x8
	s_load_dword s7, s[4:5], 0x1c
	s_add_u32 s0, s4, 16
	s_addc_u32 s1, s5, 0
	s_waitcnt lgkmcnt(0)
	s_abs_i32 s3, s3
	v_cvt_f32_u32_e32 v1, s3
	s_and_b32 s7, s7, 0xffff
	s_mul_i32 s6, s6, s7
	v_add_u32_e32 v0, s6, v0
	v_rcp_iflag_f32_e32 v1, v1
	s_sub_i32 s7, 0, s3
	v_sub_u32_e32 v3, 0, v0
	v_ashrrev_i32_e32 v2, 31, v0
	v_mul_f32_e32 v1, 0x4f7ffffe, v1
	v_cvt_u32_f32_e32 v1, v1
	v_max_i32_e32 v0, v0, v3
	v_mul_lo_u32 v3, s7, v1
	v_mul_hi_u32 v3, v1, v3
	v_add_u32_e32 v1, v1, v3
	v_mul_hi_u32 v1, v0, v1
	v_mul_lo_u32 v1, v1, s3
	v_sub_u32_e32 v0, v0, v1
	v_subrev_u32_e32 v1, s3, v0
	v_cmp_le_u32_e32 vcc, s3, v0
	v_cndmask_b32_e32 v0, v0, v1, vcc
	v_subrev_u32_e32 v1, s3, v0
	v_cmp_le_u32_e32 vcc, s3, v0
	v_cndmask_b32_e32 v0, v0, v1, vcc
	v_xor_b32_e32 v0, v0, v2
	v_sub_u32_e32 v0, v0, v2
	v_cmp_eq_u32_e32 vcc, 0, v0
	s_and_saveexec_b64 s[6:7], vcc
	s_cbranch_execz .LBB1_213
; %bb.1:
	s_mov_b64 s[6:7], exec
	v_mbcnt_lo_u32_b32 v0, s6, 0
	v_mbcnt_hi_u32_b32 v29, s7, v0
	v_cmp_eq_u32_e32 vcc, 0, v29
	s_and_saveexec_b64 s[8:9], vcc
	s_cbranch_execz .LBB1_189
; %bb.2:
	v_cvt_f32_u32_e32 v0, s2
	s_load_dwordx2 s[10:11], s[0:1], 0x50
	v_mbcnt_lo_u32_b32 v1, -1, 0
	s_sub_i32 s12, 0, s2
	v_rcp_iflag_f32_e32 v0, v0
	v_mbcnt_hi_u32_b32 v35, -1, v1
	v_readfirstlane_b32 s0, v35
	s_bcnt1_i32_b64 s3, s[6:7]
	v_mul_f32_e32 v0, 0x4f7ffffe, v0
	v_cvt_u32_f32_e32 v0, v0
	v_cmp_eq_u32_e64 s[0:1], s0, v35
	v_pk_mov_b32 v[6:7], 0, 0
	v_readfirstlane_b32 s18, v0
	s_mul_i32 s12, s12, s18
	s_mul_hi_u32 s19, s18, s12
	s_and_saveexec_b64 s[12:13], s[0:1]
	s_cbranch_execz .LBB1_8
; %bb.3:
	v_mov_b32_e32 v0, 0
	s_waitcnt lgkmcnt(0)
	global_load_dwordx2 v[4:5], v0, s[10:11] offset:24 glc
	s_waitcnt vmcnt(0)
	buffer_invl2
	buffer_wbinvl1_vol
	global_load_dwordx2 v[2:3], v0, s[10:11] offset:40
	global_load_dwordx2 v[6:7], v0, s[10:11]
	s_waitcnt vmcnt(1)
	v_and_b32_e32 v1, v2, v4
	v_and_b32_e32 v2, v3, v5
	v_mul_lo_u32 v2, v2, 24
	v_mul_hi_u32 v3, v1, 24
	v_mul_lo_u32 v1, v1, 24
	v_add_u32_e32 v3, v3, v2
	s_waitcnt vmcnt(0)
	v_add_co_u32_e32 v2, vcc, v6, v1
	v_addc_co_u32_e32 v3, vcc, v7, v3, vcc
	global_load_dwordx2 v[2:3], v[2:3], off glc
	s_waitcnt vmcnt(0)
	global_atomic_cmpswap_x2 v[6:7], v0, v[2:5], s[10:11] offset:24 glc
	s_waitcnt vmcnt(0)
	buffer_invl2
	buffer_wbinvl1_vol
	v_cmp_ne_u64_e32 vcc, v[6:7], v[4:5]
	s_and_saveexec_b64 s[14:15], vcc
	s_cbranch_execz .LBB1_7
; %bb.4:
	s_mov_b64 s[16:17], 0
.LBB1_5:                                ; =>This Inner Loop Header: Depth=1
	s_sleep 1
	global_load_dwordx2 v[2:3], v0, s[10:11] offset:40
	global_load_dwordx2 v[8:9], v0, s[10:11]
	v_pk_mov_b32 v[4:5], v[6:7], v[6:7] op_sel:[0,1]
	s_waitcnt vmcnt(1)
	v_and_b32_e32 v2, v2, v4
	v_and_b32_e32 v1, v3, v5
	s_waitcnt vmcnt(0)
	v_mad_u64_u32 v[2:3], s[20:21], v2, 24, v[8:9]
	v_mov_b32_e32 v6, v3
	v_mad_u64_u32 v[6:7], s[20:21], v1, 24, v[6:7]
	v_mov_b32_e32 v3, v6
	global_load_dwordx2 v[2:3], v[2:3], off glc
	s_waitcnt vmcnt(0)
	global_atomic_cmpswap_x2 v[6:7], v0, v[2:5], s[10:11] offset:24 glc
	s_waitcnt vmcnt(0)
	buffer_invl2
	buffer_wbinvl1_vol
	v_cmp_eq_u64_e32 vcc, v[6:7], v[4:5]
	s_or_b64 s[16:17], vcc, s[16:17]
	s_andn2_b64 exec, exec, s[16:17]
	s_cbranch_execnz .LBB1_5
; %bb.6:
	s_or_b64 exec, exec, s[16:17]
.LBB1_7:
	s_or_b64 exec, exec, s[14:15]
.LBB1_8:
	s_or_b64 exec, exec, s[12:13]
	v_mov_b32_e32 v5, 0
	s_waitcnt lgkmcnt(0)
	global_load_dwordx2 v[8:9], v5, s[10:11] offset:40
	global_load_dwordx4 v[0:3], v5, s[10:11]
	v_readfirstlane_b32 s12, v6
	v_readfirstlane_b32 s13, v7
	s_add_i32 s20, s18, s19
	s_mov_b64 s[14:15], exec
	s_waitcnt vmcnt(1)
	v_readfirstlane_b32 s16, v8
	v_readfirstlane_b32 s17, v9
	s_and_b64 s[16:17], s[12:13], s[16:17]
	s_mul_i32 s18, s17, 24
	s_mul_hi_u32 s19, s16, 24
	s_mul_i32 s21, s16, 24
	s_add_i32 s18, s19, s18
	v_mov_b32_e32 v4, s18
	s_waitcnt vmcnt(0)
	v_add_co_u32_e32 v8, vcc, s21, v0
	v_addc_co_u32_e32 v9, vcc, v1, v4, vcc
	s_and_saveexec_b64 s[18:19], s[0:1]
	s_cbranch_execz .LBB1_10
; %bb.9:
	v_pk_mov_b32 v[10:11], s[14:15], s[14:15] op_sel:[0,1]
	v_mov_b32_e32 v12, 2
	v_mov_b32_e32 v13, 1
	global_store_dwordx4 v[8:9], v[10:13], off offset:8
.LBB1_10:
	s_or_b64 exec, exec, s[18:19]
	s_lshl_b64 s[14:15], s[16:17], 12
	v_mov_b32_e32 v4, s15
	v_add_co_u32_e32 v2, vcc, s14, v2
	v_addc_co_u32_e32 v3, vcc, v3, v4, vcc
	s_mov_b32 s16, 0
	v_lshlrev_b32_e32 v34, 6, v35
	v_add_co_u32_e32 v10, vcc, v2, v34
	v_mov_b32_e32 v4, 33
	v_mov_b32_e32 v6, v5
	;; [unrolled: 1-line block ×3, first 2 shown]
	v_readfirstlane_b32 s14, v2
	v_readfirstlane_b32 s15, v3
	s_mov_b32 s17, s16
	v_addc_co_u32_e32 v11, vcc, 0, v3, vcc
	s_mov_b32 s18, s16
	s_mov_b32 s19, s16
	s_nop 0
	global_store_dwordx4 v34, v[4:7], s[14:15]
	v_pk_mov_b32 v[2:3], s[16:17], s[16:17] op_sel:[0,1]
	s_mul_hi_u32 s26, s3, s20
	v_pk_mov_b32 v[4:5], s[18:19], s[18:19] op_sel:[0,1]
	global_store_dwordx4 v34, v[2:5], s[14:15] offset:16
	global_store_dwordx4 v34, v[2:5], s[14:15] offset:32
	;; [unrolled: 1-line block ×3, first 2 shown]
	s_and_saveexec_b64 s[14:15], s[0:1]
	s_cbranch_execz .LBB1_18
; %bb.11:
	v_mov_b32_e32 v6, 0
	global_load_dwordx2 v[14:15], v6, s[10:11] offset:32 glc
	global_load_dwordx2 v[2:3], v6, s[10:11] offset:40
	v_mov_b32_e32 v12, s12
	v_mov_b32_e32 v13, s13
	s_waitcnt vmcnt(0)
	v_and_b32_e32 v2, s12, v2
	v_and_b32_e32 v3, s13, v3
	v_mul_lo_u32 v3, v3, 24
	v_mul_hi_u32 v4, v2, 24
	v_mul_lo_u32 v2, v2, 24
	v_add_u32_e32 v3, v4, v3
	v_add_co_u32_e32 v4, vcc, v0, v2
	v_addc_co_u32_e32 v5, vcc, v1, v3, vcc
	global_store_dwordx2 v[4:5], v[14:15], off
	buffer_wbl2
	s_waitcnt vmcnt(0)
	global_atomic_cmpswap_x2 v[2:3], v6, v[12:15], s[10:11] offset:32 glc
	s_waitcnt vmcnt(0)
	v_cmp_ne_u64_e32 vcc, v[2:3], v[14:15]
	s_and_saveexec_b64 s[16:17], vcc
	s_cbranch_execz .LBB1_14
; %bb.12:
	s_mov_b64 s[18:19], 0
.LBB1_13:                               ; =>This Inner Loop Header: Depth=1
	s_sleep 1
	global_store_dwordx2 v[4:5], v[2:3], off
	v_mov_b32_e32 v0, s12
	v_mov_b32_e32 v1, s13
	buffer_wbl2
	s_waitcnt vmcnt(0)
	global_atomic_cmpswap_x2 v[0:1], v6, v[0:3], s[10:11] offset:32 glc
	s_waitcnt vmcnt(0)
	v_cmp_eq_u64_e32 vcc, v[0:1], v[2:3]
	s_or_b64 s[18:19], vcc, s[18:19]
	v_pk_mov_b32 v[2:3], v[0:1], v[0:1] op_sel:[0,1]
	s_andn2_b64 exec, exec, s[18:19]
	s_cbranch_execnz .LBB1_13
.LBB1_14:
	s_or_b64 exec, exec, s[16:17]
	v_mov_b32_e32 v3, 0
	global_load_dwordx2 v[0:1], v3, s[10:11] offset:16
	s_mov_b64 s[16:17], exec
	v_mbcnt_lo_u32_b32 v2, s16, 0
	v_mbcnt_hi_u32_b32 v2, s17, v2
	v_cmp_eq_u32_e32 vcc, 0, v2
	s_and_saveexec_b64 s[18:19], vcc
	s_cbranch_execz .LBB1_16
; %bb.15:
	s_bcnt1_i32_b64 s16, s[16:17]
	v_mov_b32_e32 v2, s16
	buffer_wbl2
	s_waitcnt vmcnt(0)
	global_atomic_add_x2 v[0:1], v[2:3], off offset:8
.LBB1_16:
	s_or_b64 exec, exec, s[18:19]
	s_waitcnt vmcnt(0)
	global_load_dwordx2 v[2:3], v[0:1], off offset:16
	s_waitcnt vmcnt(0)
	v_cmp_eq_u64_e32 vcc, 0, v[2:3]
	s_cbranch_vccnz .LBB1_18
; %bb.17:
	global_load_dword v0, v[0:1], off offset:24
	v_mov_b32_e32 v1, 0
	buffer_wbl2
	s_waitcnt vmcnt(0)
	global_store_dwordx2 v[2:3], v[0:1], off
	v_and_b32_e32 v0, 0xffffff, v0
	v_readfirstlane_b32 m0, v0
	s_sendmsg sendmsg(MSG_INTERRUPT)
.LBB1_18:
	s_or_b64 exec, exec, s[14:15]
	s_branch .LBB1_22
.LBB1_19:                               ;   in Loop: Header=BB1_22 Depth=1
	s_or_b64 exec, exec, s[14:15]
	v_readfirstlane_b32 s14, v0
	s_cmp_eq_u32 s14, 0
	s_cbranch_scc1 .LBB1_21
; %bb.20:                               ;   in Loop: Header=BB1_22 Depth=1
	s_sleep 1
	s_cbranch_execnz .LBB1_22
	s_branch .LBB1_24
.LBB1_21:
	s_branch .LBB1_24
.LBB1_22:                               ; =>This Inner Loop Header: Depth=1
	v_mov_b32_e32 v0, 1
	s_and_saveexec_b64 s[14:15], s[0:1]
	s_cbranch_execz .LBB1_19
; %bb.23:                               ;   in Loop: Header=BB1_22 Depth=1
	global_load_dword v0, v[8:9], off offset:20 glc
	s_waitcnt vmcnt(0)
	buffer_invl2
	buffer_wbinvl1_vol
	v_and_b32_e32 v0, 1, v0
	s_branch .LBB1_19
.LBB1_24:
	global_load_dwordx2 v[0:1], v[10:11], off
	s_and_saveexec_b64 s[14:15], s[0:1]
	s_cbranch_execz .LBB1_27
; %bb.25:
	v_mov_b32_e32 v8, 0
	global_load_dwordx2 v[6:7], v8, s[10:11] offset:40
	global_load_dwordx2 v[10:11], v8, s[10:11] offset:24 glc
	global_load_dwordx2 v[12:13], v8, s[10:11]
	v_mov_b32_e32 v3, s13
	s_mov_b64 s[0:1], 0
	s_waitcnt vmcnt(2)
	v_add_co_u32_e32 v5, vcc, 1, v6
	v_addc_co_u32_e32 v9, vcc, 0, v7, vcc
	v_add_co_u32_e32 v2, vcc, s12, v5
	v_addc_co_u32_e32 v3, vcc, v9, v3, vcc
	v_cmp_eq_u64_e32 vcc, 0, v[2:3]
	v_cndmask_b32_e32 v3, v3, v9, vcc
	v_cndmask_b32_e32 v2, v2, v5, vcc
	v_and_b32_e32 v5, v3, v7
	v_and_b32_e32 v6, v2, v6
	v_mul_lo_u32 v5, v5, 24
	v_mul_hi_u32 v7, v6, 24
	v_mul_lo_u32 v6, v6, 24
	v_add_u32_e32 v5, v7, v5
	s_waitcnt vmcnt(0)
	v_add_co_u32_e32 v6, vcc, v12, v6
	v_addc_co_u32_e32 v7, vcc, v13, v5, vcc
	v_mov_b32_e32 v4, v10
	global_store_dwordx2 v[6:7], v[10:11], off
	v_mov_b32_e32 v5, v11
	buffer_wbl2
	s_waitcnt vmcnt(0)
	global_atomic_cmpswap_x2 v[4:5], v8, v[2:5], s[10:11] offset:24 glc
	s_waitcnt vmcnt(0)
	v_cmp_ne_u64_e32 vcc, v[4:5], v[10:11]
	s_and_b64 exec, exec, vcc
	s_cbranch_execz .LBB1_27
.LBB1_26:                               ; =>This Inner Loop Header: Depth=1
	s_sleep 1
	global_store_dwordx2 v[6:7], v[4:5], off
	buffer_wbl2
	s_waitcnt vmcnt(0)
	global_atomic_cmpswap_x2 v[10:11], v8, v[2:5], s[10:11] offset:24 glc
	s_waitcnt vmcnt(0)
	v_cmp_eq_u64_e32 vcc, v[10:11], v[4:5]
	s_or_b64 s[0:1], vcc, s[0:1]
	v_pk_mov_b32 v[4:5], v[10:11], v[10:11] op_sel:[0,1]
	s_andn2_b64 exec, exec, s[0:1]
	s_cbranch_execnz .LBB1_26
.LBB1_27:
	s_or_b64 exec, exec, s[14:15]
	s_getpc_b64 s[12:13]
	s_add_u32 s12, s12, .str@rel32@lo+4
	s_addc_u32 s13, s13, .str@rel32@hi+12
	s_cmp_lg_u64 s[12:13], 0
	s_cbranch_scc0 .LBB1_112
; %bb.28:
	s_waitcnt vmcnt(0)
	v_and_b32_e32 v28, 2, v0
	v_mov_b32_e32 v31, 0
	v_and_b32_e32 v2, -3, v0
	v_mov_b32_e32 v3, v1
	s_mov_b64 s[14:15], 48
	v_mov_b32_e32 v6, 2
	v_mov_b32_e32 v7, 1
	s_branch .LBB1_30
.LBB1_29:                               ;   in Loop: Header=BB1_30 Depth=1
	s_or_b64 exec, exec, s[20:21]
	s_sub_u32 s14, s14, s16
	s_subb_u32 s15, s15, s17
	s_add_u32 s12, s12, s16
	s_addc_u32 s13, s13, s17
	s_cmp_lg_u64 s[14:15], 0
	s_cbranch_scc0 .LBB1_111
.LBB1_30:                               ; =>This Loop Header: Depth=1
                                        ;     Child Loop BB1_33 Depth 2
                                        ;     Child Loop BB1_40 Depth 2
	;; [unrolled: 1-line block ×11, first 2 shown]
	v_cmp_lt_u64_e64 s[0:1], s[14:15], 56
	s_and_b64 s[0:1], s[0:1], exec
	v_cmp_gt_u64_e64 s[0:1], s[14:15], 7
	s_cselect_b32 s17, s15, 0
	s_cselect_b32 s16, s14, 56
	s_and_b64 vcc, exec, s[0:1]
	s_cbranch_vccnz .LBB1_35
; %bb.31:                               ;   in Loop: Header=BB1_30 Depth=1
	s_mov_b64 s[0:1], 0
	s_cmp_eq_u64 s[14:15], 0
	v_pk_mov_b32 v[10:11], 0, 0
	s_cbranch_scc1 .LBB1_34
; %bb.32:                               ;   in Loop: Header=BB1_30 Depth=1
	s_lshl_b64 s[18:19], s[16:17], 3
	s_mov_b64 s[20:21], 0
	v_pk_mov_b32 v[10:11], 0, 0
	s_mov_b64 s[22:23], s[12:13]
.LBB1_33:                               ;   Parent Loop BB1_30 Depth=1
                                        ; =>  This Inner Loop Header: Depth=2
	global_load_ubyte v4, v31, s[22:23]
	s_waitcnt vmcnt(0)
	v_and_b32_e32 v30, 0xffff, v4
	v_lshlrev_b64 v[4:5], s20, v[30:31]
	s_add_u32 s20, s20, 8
	s_addc_u32 s21, s21, 0
	s_add_u32 s22, s22, 1
	s_addc_u32 s23, s23, 0
	v_or_b32_e32 v10, v4, v10
	s_cmp_lg_u32 s18, s20
	v_or_b32_e32 v11, v5, v11
	s_cbranch_scc1 .LBB1_33
.LBB1_34:                               ;   in Loop: Header=BB1_30 Depth=1
	s_mov_b32 s22, 0
	s_andn2_b64 vcc, exec, s[0:1]
	s_mov_b64 s[0:1], s[12:13]
	s_cbranch_vccz .LBB1_36
	s_branch .LBB1_37
.LBB1_35:                               ;   in Loop: Header=BB1_30 Depth=1
                                        ; implicit-def: $vgpr10_vgpr11
                                        ; implicit-def: $sgpr22
	s_mov_b64 s[0:1], s[12:13]
.LBB1_36:                               ;   in Loop: Header=BB1_30 Depth=1
	global_load_dwordx2 v[10:11], v31, s[12:13]
	s_add_i32 s22, s16, -8
	s_add_u32 s0, s12, 8
	s_addc_u32 s1, s13, 0
.LBB1_37:                               ;   in Loop: Header=BB1_30 Depth=1
	s_cmp_gt_u32 s22, 7
	s_cbranch_scc1 .LBB1_41
; %bb.38:                               ;   in Loop: Header=BB1_30 Depth=1
	s_cmp_eq_u32 s22, 0
	s_cbranch_scc1 .LBB1_42
; %bb.39:                               ;   in Loop: Header=BB1_30 Depth=1
	s_mov_b64 s[18:19], 0
	v_pk_mov_b32 v[12:13], 0, 0
	s_mov_b64 s[20:21], 0
.LBB1_40:                               ;   Parent Loop BB1_30 Depth=1
                                        ; =>  This Inner Loop Header: Depth=2
	s_add_u32 s24, s0, s20
	s_addc_u32 s25, s1, s21
	global_load_ubyte v4, v31, s[24:25]
	s_add_u32 s20, s20, 1
	s_addc_u32 s21, s21, 0
	s_waitcnt vmcnt(0)
	v_and_b32_e32 v30, 0xffff, v4
	v_lshlrev_b64 v[4:5], s18, v[30:31]
	s_add_u32 s18, s18, 8
	s_addc_u32 s19, s19, 0
	v_or_b32_e32 v12, v4, v12
	s_cmp_lg_u32 s22, s20
	v_or_b32_e32 v13, v5, v13
	s_cbranch_scc1 .LBB1_40
	s_branch .LBB1_43
.LBB1_41:                               ;   in Loop: Header=BB1_30 Depth=1
                                        ; implicit-def: $vgpr12_vgpr13
                                        ; implicit-def: $sgpr23
	s_branch .LBB1_44
.LBB1_42:                               ;   in Loop: Header=BB1_30 Depth=1
	v_pk_mov_b32 v[12:13], 0, 0
.LBB1_43:                               ;   in Loop: Header=BB1_30 Depth=1
	s_mov_b32 s23, 0
	s_cbranch_execnz .LBB1_45
.LBB1_44:                               ;   in Loop: Header=BB1_30 Depth=1
	global_load_dwordx2 v[12:13], v31, s[0:1]
	s_add_i32 s23, s22, -8
	s_add_u32 s0, s0, 8
	s_addc_u32 s1, s1, 0
.LBB1_45:                               ;   in Loop: Header=BB1_30 Depth=1
	s_cmp_gt_u32 s23, 7
	s_cbranch_scc1 .LBB1_49
; %bb.46:                               ;   in Loop: Header=BB1_30 Depth=1
	s_cmp_eq_u32 s23, 0
	s_cbranch_scc1 .LBB1_50
; %bb.47:                               ;   in Loop: Header=BB1_30 Depth=1
	s_mov_b64 s[18:19], 0
	v_pk_mov_b32 v[14:15], 0, 0
	s_mov_b64 s[20:21], 0
.LBB1_48:                               ;   Parent Loop BB1_30 Depth=1
                                        ; =>  This Inner Loop Header: Depth=2
	s_add_u32 s24, s0, s20
	s_addc_u32 s25, s1, s21
	global_load_ubyte v4, v31, s[24:25]
	s_add_u32 s20, s20, 1
	s_addc_u32 s21, s21, 0
	s_waitcnt vmcnt(0)
	v_and_b32_e32 v30, 0xffff, v4
	v_lshlrev_b64 v[4:5], s18, v[30:31]
	s_add_u32 s18, s18, 8
	s_addc_u32 s19, s19, 0
	v_or_b32_e32 v14, v4, v14
	s_cmp_lg_u32 s23, s20
	v_or_b32_e32 v15, v5, v15
	s_cbranch_scc1 .LBB1_48
	s_branch .LBB1_51
.LBB1_49:                               ;   in Loop: Header=BB1_30 Depth=1
                                        ; implicit-def: $sgpr22
	s_branch .LBB1_52
.LBB1_50:                               ;   in Loop: Header=BB1_30 Depth=1
	v_pk_mov_b32 v[14:15], 0, 0
.LBB1_51:                               ;   in Loop: Header=BB1_30 Depth=1
	s_mov_b32 s22, 0
	s_cbranch_execnz .LBB1_53
.LBB1_52:                               ;   in Loop: Header=BB1_30 Depth=1
	global_load_dwordx2 v[14:15], v31, s[0:1]
	s_add_i32 s22, s23, -8
	s_add_u32 s0, s0, 8
	s_addc_u32 s1, s1, 0
.LBB1_53:                               ;   in Loop: Header=BB1_30 Depth=1
	s_cmp_gt_u32 s22, 7
	s_cbranch_scc1 .LBB1_57
; %bb.54:                               ;   in Loop: Header=BB1_30 Depth=1
	s_cmp_eq_u32 s22, 0
	s_cbranch_scc1 .LBB1_58
; %bb.55:                               ;   in Loop: Header=BB1_30 Depth=1
	s_mov_b64 s[18:19], 0
	v_pk_mov_b32 v[16:17], 0, 0
	s_mov_b64 s[20:21], 0
.LBB1_56:                               ;   Parent Loop BB1_30 Depth=1
                                        ; =>  This Inner Loop Header: Depth=2
	s_add_u32 s24, s0, s20
	s_addc_u32 s25, s1, s21
	global_load_ubyte v4, v31, s[24:25]
	s_add_u32 s20, s20, 1
	s_addc_u32 s21, s21, 0
	s_waitcnt vmcnt(0)
	v_and_b32_e32 v30, 0xffff, v4
	v_lshlrev_b64 v[4:5], s18, v[30:31]
	s_add_u32 s18, s18, 8
	s_addc_u32 s19, s19, 0
	v_or_b32_e32 v16, v4, v16
	s_cmp_lg_u32 s22, s20
	v_or_b32_e32 v17, v5, v17
	s_cbranch_scc1 .LBB1_56
	s_branch .LBB1_59
.LBB1_57:                               ;   in Loop: Header=BB1_30 Depth=1
                                        ; implicit-def: $vgpr16_vgpr17
                                        ; implicit-def: $sgpr23
	s_branch .LBB1_60
.LBB1_58:                               ;   in Loop: Header=BB1_30 Depth=1
	v_pk_mov_b32 v[16:17], 0, 0
.LBB1_59:                               ;   in Loop: Header=BB1_30 Depth=1
	s_mov_b32 s23, 0
	s_cbranch_execnz .LBB1_61
.LBB1_60:                               ;   in Loop: Header=BB1_30 Depth=1
	global_load_dwordx2 v[16:17], v31, s[0:1]
	s_add_i32 s23, s22, -8
	s_add_u32 s0, s0, 8
	s_addc_u32 s1, s1, 0
.LBB1_61:                               ;   in Loop: Header=BB1_30 Depth=1
	s_cmp_gt_u32 s23, 7
	s_cbranch_scc1 .LBB1_65
; %bb.62:                               ;   in Loop: Header=BB1_30 Depth=1
	s_cmp_eq_u32 s23, 0
	s_cbranch_scc1 .LBB1_66
; %bb.63:                               ;   in Loop: Header=BB1_30 Depth=1
	s_mov_b64 s[18:19], 0
	v_pk_mov_b32 v[18:19], 0, 0
	s_mov_b64 s[20:21], 0
.LBB1_64:                               ;   Parent Loop BB1_30 Depth=1
                                        ; =>  This Inner Loop Header: Depth=2
	s_add_u32 s24, s0, s20
	s_addc_u32 s25, s1, s21
	global_load_ubyte v4, v31, s[24:25]
	s_add_u32 s20, s20, 1
	s_addc_u32 s21, s21, 0
	s_waitcnt vmcnt(0)
	v_and_b32_e32 v30, 0xffff, v4
	v_lshlrev_b64 v[4:5], s18, v[30:31]
	s_add_u32 s18, s18, 8
	s_addc_u32 s19, s19, 0
	v_or_b32_e32 v18, v4, v18
	s_cmp_lg_u32 s23, s20
	v_or_b32_e32 v19, v5, v19
	s_cbranch_scc1 .LBB1_64
	s_branch .LBB1_67
.LBB1_65:                               ;   in Loop: Header=BB1_30 Depth=1
                                        ; implicit-def: $sgpr22
	s_branch .LBB1_68
.LBB1_66:                               ;   in Loop: Header=BB1_30 Depth=1
	v_pk_mov_b32 v[18:19], 0, 0
.LBB1_67:                               ;   in Loop: Header=BB1_30 Depth=1
	s_mov_b32 s22, 0
	s_cbranch_execnz .LBB1_69
.LBB1_68:                               ;   in Loop: Header=BB1_30 Depth=1
	global_load_dwordx2 v[18:19], v31, s[0:1]
	s_add_i32 s22, s23, -8
	s_add_u32 s0, s0, 8
	s_addc_u32 s1, s1, 0
.LBB1_69:                               ;   in Loop: Header=BB1_30 Depth=1
	s_cmp_gt_u32 s22, 7
	s_cbranch_scc1 .LBB1_73
; %bb.70:                               ;   in Loop: Header=BB1_30 Depth=1
	s_cmp_eq_u32 s22, 0
	s_cbranch_scc1 .LBB1_74
; %bb.71:                               ;   in Loop: Header=BB1_30 Depth=1
	s_mov_b64 s[18:19], 0
	v_pk_mov_b32 v[20:21], 0, 0
	s_mov_b64 s[20:21], 0
.LBB1_72:                               ;   Parent Loop BB1_30 Depth=1
                                        ; =>  This Inner Loop Header: Depth=2
	s_add_u32 s24, s0, s20
	s_addc_u32 s25, s1, s21
	global_load_ubyte v4, v31, s[24:25]
	s_add_u32 s20, s20, 1
	s_addc_u32 s21, s21, 0
	s_waitcnt vmcnt(0)
	v_and_b32_e32 v30, 0xffff, v4
	v_lshlrev_b64 v[4:5], s18, v[30:31]
	s_add_u32 s18, s18, 8
	s_addc_u32 s19, s19, 0
	v_or_b32_e32 v20, v4, v20
	s_cmp_lg_u32 s22, s20
	v_or_b32_e32 v21, v5, v21
	s_cbranch_scc1 .LBB1_72
	s_branch .LBB1_75
.LBB1_73:                               ;   in Loop: Header=BB1_30 Depth=1
                                        ; implicit-def: $vgpr20_vgpr21
                                        ; implicit-def: $sgpr23
	s_branch .LBB1_76
.LBB1_74:                               ;   in Loop: Header=BB1_30 Depth=1
	v_pk_mov_b32 v[20:21], 0, 0
.LBB1_75:                               ;   in Loop: Header=BB1_30 Depth=1
	s_mov_b32 s23, 0
	s_cbranch_execnz .LBB1_77
.LBB1_76:                               ;   in Loop: Header=BB1_30 Depth=1
	global_load_dwordx2 v[20:21], v31, s[0:1]
	s_add_i32 s23, s22, -8
	s_add_u32 s0, s0, 8
	s_addc_u32 s1, s1, 0
.LBB1_77:                               ;   in Loop: Header=BB1_30 Depth=1
	s_cmp_gt_u32 s23, 7
	s_cbranch_scc1 .LBB1_81
; %bb.78:                               ;   in Loop: Header=BB1_30 Depth=1
	s_cmp_eq_u32 s23, 0
	s_cbranch_scc1 .LBB1_82
; %bb.79:                               ;   in Loop: Header=BB1_30 Depth=1
	s_mov_b64 s[18:19], 0
	v_pk_mov_b32 v[22:23], 0, 0
	s_mov_b64 s[20:21], s[0:1]
.LBB1_80:                               ;   Parent Loop BB1_30 Depth=1
                                        ; =>  This Inner Loop Header: Depth=2
	global_load_ubyte v4, v31, s[20:21]
	s_add_i32 s23, s23, -1
	s_waitcnt vmcnt(0)
	v_and_b32_e32 v30, 0xffff, v4
	v_lshlrev_b64 v[4:5], s18, v[30:31]
	s_add_u32 s18, s18, 8
	s_addc_u32 s19, s19, 0
	s_add_u32 s20, s20, 1
	s_addc_u32 s21, s21, 0
	v_or_b32_e32 v22, v4, v22
	s_cmp_lg_u32 s23, 0
	v_or_b32_e32 v23, v5, v23
	s_cbranch_scc1 .LBB1_80
	s_branch .LBB1_83
.LBB1_81:                               ;   in Loop: Header=BB1_30 Depth=1
	s_branch .LBB1_84
.LBB1_82:                               ;   in Loop: Header=BB1_30 Depth=1
	v_pk_mov_b32 v[22:23], 0, 0
.LBB1_83:                               ;   in Loop: Header=BB1_30 Depth=1
	s_cbranch_execnz .LBB1_85
.LBB1_84:                               ;   in Loop: Header=BB1_30 Depth=1
	global_load_dwordx2 v[22:23], v31, s[0:1]
.LBB1_85:                               ;   in Loop: Header=BB1_30 Depth=1
	v_readfirstlane_b32 s0, v35
	v_cmp_eq_u32_e64 s[0:1], s0, v35
	s_waitcnt vmcnt(0)
	v_pk_mov_b32 v[4:5], 0, 0
	s_and_saveexec_b64 s[18:19], s[0:1]
	s_cbranch_execz .LBB1_91
; %bb.86:                               ;   in Loop: Header=BB1_30 Depth=1
	global_load_dwordx2 v[26:27], v31, s[10:11] offset:24 glc
	s_waitcnt vmcnt(0)
	buffer_invl2
	buffer_wbinvl1_vol
	global_load_dwordx2 v[4:5], v31, s[10:11] offset:40
	global_load_dwordx2 v[8:9], v31, s[10:11]
	s_waitcnt vmcnt(1)
	v_and_b32_e32 v4, v4, v26
	v_and_b32_e32 v5, v5, v27
	v_mul_lo_u32 v5, v5, 24
	v_mul_hi_u32 v24, v4, 24
	v_mul_lo_u32 v4, v4, 24
	v_add_u32_e32 v5, v24, v5
	s_waitcnt vmcnt(0)
	v_add_co_u32_e32 v4, vcc, v8, v4
	v_addc_co_u32_e32 v5, vcc, v9, v5, vcc
	global_load_dwordx2 v[24:25], v[4:5], off glc
	s_waitcnt vmcnt(0)
	global_atomic_cmpswap_x2 v[4:5], v31, v[24:27], s[10:11] offset:24 glc
	s_waitcnt vmcnt(0)
	buffer_invl2
	buffer_wbinvl1_vol
	v_cmp_ne_u64_e32 vcc, v[4:5], v[26:27]
	s_and_saveexec_b64 s[20:21], vcc
	s_cbranch_execz .LBB1_90
; %bb.87:                               ;   in Loop: Header=BB1_30 Depth=1
	s_mov_b64 s[22:23], 0
.LBB1_88:                               ;   Parent Loop BB1_30 Depth=1
                                        ; =>  This Inner Loop Header: Depth=2
	s_sleep 1
	global_load_dwordx2 v[8:9], v31, s[10:11] offset:40
	global_load_dwordx2 v[24:25], v31, s[10:11]
	v_pk_mov_b32 v[26:27], v[4:5], v[4:5] op_sel:[0,1]
	s_waitcnt vmcnt(1)
	v_and_b32_e32 v4, v8, v26
	s_waitcnt vmcnt(0)
	v_mad_u64_u32 v[4:5], s[24:25], v4, 24, v[24:25]
	v_and_b32_e32 v9, v9, v27
	v_mov_b32_e32 v8, v5
	v_mad_u64_u32 v[8:9], s[24:25], v9, 24, v[8:9]
	v_mov_b32_e32 v5, v8
	global_load_dwordx2 v[24:25], v[4:5], off glc
	s_waitcnt vmcnt(0)
	global_atomic_cmpswap_x2 v[4:5], v31, v[24:27], s[10:11] offset:24 glc
	s_waitcnt vmcnt(0)
	buffer_invl2
	buffer_wbinvl1_vol
	v_cmp_eq_u64_e32 vcc, v[4:5], v[26:27]
	s_or_b64 s[22:23], vcc, s[22:23]
	s_andn2_b64 exec, exec, s[22:23]
	s_cbranch_execnz .LBB1_88
; %bb.89:                               ;   in Loop: Header=BB1_30 Depth=1
	s_or_b64 exec, exec, s[22:23]
.LBB1_90:                               ;   in Loop: Header=BB1_30 Depth=1
	s_or_b64 exec, exec, s[20:21]
.LBB1_91:                               ;   in Loop: Header=BB1_30 Depth=1
	s_or_b64 exec, exec, s[18:19]
	global_load_dwordx2 v[8:9], v31, s[10:11] offset:40
	global_load_dwordx4 v[24:27], v31, s[10:11]
	v_readfirstlane_b32 s18, v4
	v_readfirstlane_b32 s19, v5
	s_mov_b64 s[20:21], exec
	s_waitcnt vmcnt(1)
	v_readfirstlane_b32 s22, v8
	v_readfirstlane_b32 s23, v9
	s_and_b64 s[22:23], s[18:19], s[22:23]
	s_mul_i32 s24, s23, 24
	s_mul_hi_u32 s25, s22, 24
	s_mul_i32 s27, s22, 24
	s_add_i32 s24, s25, s24
	v_mov_b32_e32 v4, s24
	s_waitcnt vmcnt(0)
	v_add_co_u32_e32 v32, vcc, s27, v24
	v_addc_co_u32_e32 v33, vcc, v25, v4, vcc
	s_and_saveexec_b64 s[24:25], s[0:1]
	s_cbranch_execz .LBB1_93
; %bb.92:                               ;   in Loop: Header=BB1_30 Depth=1
	v_pk_mov_b32 v[4:5], s[20:21], s[20:21] op_sel:[0,1]
	global_store_dwordx4 v[32:33], v[4:7], off offset:8
.LBB1_93:                               ;   in Loop: Header=BB1_30 Depth=1
	s_or_b64 exec, exec, s[24:25]
	s_lshl_b64 s[20:21], s[22:23], 12
	v_mov_b32_e32 v4, s21
	v_add_co_u32_e32 v26, vcc, s20, v26
	v_addc_co_u32_e32 v27, vcc, v27, v4, vcc
	v_or_b32_e32 v5, v2, v28
	v_cmp_gt_u64_e64 vcc, s[14:15], 56
	s_lshl_b32 s20, s16, 2
	v_cndmask_b32_e32 v2, v5, v2, vcc
	s_add_i32 s20, s20, 28
	v_or_b32_e32 v4, 0, v3
	s_and_b32 s20, s20, 0x1e0
	v_and_b32_e32 v2, 0xffffff1f, v2
	v_cndmask_b32_e32 v9, v4, v3, vcc
	v_or_b32_e32 v8, s20, v2
	v_readfirstlane_b32 s20, v26
	v_readfirstlane_b32 s21, v27
	s_nop 4
	global_store_dwordx4 v34, v[8:11], s[20:21]
	global_store_dwordx4 v34, v[12:15], s[20:21] offset:16
	global_store_dwordx4 v34, v[16:19], s[20:21] offset:32
	;; [unrolled: 1-line block ×3, first 2 shown]
	s_and_saveexec_b64 s[20:21], s[0:1]
	s_cbranch_execz .LBB1_101
; %bb.94:                               ;   in Loop: Header=BB1_30 Depth=1
	global_load_dwordx2 v[12:13], v31, s[10:11] offset:32 glc
	global_load_dwordx2 v[2:3], v31, s[10:11] offset:40
	v_mov_b32_e32 v10, s18
	v_mov_b32_e32 v11, s19
	s_waitcnt vmcnt(0)
	v_readfirstlane_b32 s22, v2
	v_readfirstlane_b32 s23, v3
	s_and_b64 s[22:23], s[22:23], s[18:19]
	s_mul_i32 s23, s23, 24
	s_mul_hi_u32 s24, s22, 24
	s_mul_i32 s22, s22, 24
	s_add_i32 s23, s24, s23
	v_mov_b32_e32 v2, s23
	v_add_co_u32_e32 v8, vcc, s22, v24
	v_addc_co_u32_e32 v9, vcc, v25, v2, vcc
	global_store_dwordx2 v[8:9], v[12:13], off
	buffer_wbl2
	s_waitcnt vmcnt(0)
	global_atomic_cmpswap_x2 v[4:5], v31, v[10:13], s[10:11] offset:32 glc
	s_waitcnt vmcnt(0)
	v_cmp_ne_u64_e32 vcc, v[4:5], v[12:13]
	s_and_saveexec_b64 s[22:23], vcc
	s_cbranch_execz .LBB1_97
; %bb.95:                               ;   in Loop: Header=BB1_30 Depth=1
	s_mov_b64 s[24:25], 0
.LBB1_96:                               ;   Parent Loop BB1_30 Depth=1
                                        ; =>  This Inner Loop Header: Depth=2
	s_sleep 1
	global_store_dwordx2 v[8:9], v[4:5], off
	v_mov_b32_e32 v2, s18
	v_mov_b32_e32 v3, s19
	buffer_wbl2
	s_waitcnt vmcnt(0)
	global_atomic_cmpswap_x2 v[2:3], v31, v[2:5], s[10:11] offset:32 glc
	s_waitcnt vmcnt(0)
	v_cmp_eq_u64_e32 vcc, v[2:3], v[4:5]
	s_or_b64 s[24:25], vcc, s[24:25]
	v_pk_mov_b32 v[4:5], v[2:3], v[2:3] op_sel:[0,1]
	s_andn2_b64 exec, exec, s[24:25]
	s_cbranch_execnz .LBB1_96
.LBB1_97:                               ;   in Loop: Header=BB1_30 Depth=1
	s_or_b64 exec, exec, s[22:23]
	global_load_dwordx2 v[2:3], v31, s[10:11] offset:16
	s_mov_b64 s[24:25], exec
	v_mbcnt_lo_u32_b32 v4, s24, 0
	v_mbcnt_hi_u32_b32 v4, s25, v4
	v_cmp_eq_u32_e32 vcc, 0, v4
	s_and_saveexec_b64 s[22:23], vcc
	s_cbranch_execz .LBB1_99
; %bb.98:                               ;   in Loop: Header=BB1_30 Depth=1
	s_bcnt1_i32_b64 s24, s[24:25]
	v_mov_b32_e32 v30, s24
	buffer_wbl2
	s_waitcnt vmcnt(0)
	global_atomic_add_x2 v[2:3], v[30:31], off offset:8
.LBB1_99:                               ;   in Loop: Header=BB1_30 Depth=1
	s_or_b64 exec, exec, s[22:23]
	s_waitcnt vmcnt(0)
	global_load_dwordx2 v[4:5], v[2:3], off offset:16
	s_waitcnt vmcnt(0)
	v_cmp_eq_u64_e32 vcc, 0, v[4:5]
	s_cbranch_vccnz .LBB1_101
; %bb.100:                              ;   in Loop: Header=BB1_30 Depth=1
	global_load_dword v30, v[2:3], off offset:24
	s_waitcnt vmcnt(0)
	v_and_b32_e32 v2, 0xffffff, v30
	v_readfirstlane_b32 m0, v2
	buffer_wbl2
	global_store_dwordx2 v[4:5], v[30:31], off
	s_sendmsg sendmsg(MSG_INTERRUPT)
.LBB1_101:                              ;   in Loop: Header=BB1_30 Depth=1
	s_or_b64 exec, exec, s[20:21]
	v_add_co_u32_e32 v2, vcc, v26, v34
	v_addc_co_u32_e32 v3, vcc, 0, v27, vcc
	s_branch .LBB1_105
.LBB1_102:                              ;   in Loop: Header=BB1_105 Depth=2
	s_or_b64 exec, exec, s[20:21]
	v_readfirstlane_b32 s20, v4
	s_cmp_eq_u32 s20, 0
	s_cbranch_scc1 .LBB1_104
; %bb.103:                              ;   in Loop: Header=BB1_105 Depth=2
	s_sleep 1
	s_cbranch_execnz .LBB1_105
	s_branch .LBB1_107
.LBB1_104:                              ;   in Loop: Header=BB1_30 Depth=1
	s_branch .LBB1_107
.LBB1_105:                              ;   Parent Loop BB1_30 Depth=1
                                        ; =>  This Inner Loop Header: Depth=2
	v_mov_b32_e32 v4, 1
	s_and_saveexec_b64 s[20:21], s[0:1]
	s_cbranch_execz .LBB1_102
; %bb.106:                              ;   in Loop: Header=BB1_105 Depth=2
	global_load_dword v4, v[32:33], off offset:20 glc
	s_waitcnt vmcnt(0)
	buffer_invl2
	buffer_wbinvl1_vol
	v_and_b32_e32 v4, 1, v4
	s_branch .LBB1_102
.LBB1_107:                              ;   in Loop: Header=BB1_30 Depth=1
	global_load_dwordx4 v[2:5], v[2:3], off
	s_and_saveexec_b64 s[20:21], s[0:1]
	s_cbranch_execz .LBB1_29
; %bb.108:                              ;   in Loop: Header=BB1_30 Depth=1
	global_load_dwordx2 v[4:5], v31, s[10:11] offset:40
	global_load_dwordx2 v[12:13], v31, s[10:11] offset:24 glc
	global_load_dwordx2 v[14:15], v31, s[10:11]
	v_mov_b32_e32 v9, s19
	s_waitcnt vmcnt(2)
	v_add_co_u32_e32 v11, vcc, 1, v4
	v_addc_co_u32_e32 v16, vcc, 0, v5, vcc
	v_add_co_u32_e32 v8, vcc, s18, v11
	v_addc_co_u32_e32 v9, vcc, v16, v9, vcc
	v_cmp_eq_u64_e32 vcc, 0, v[8:9]
	v_cndmask_b32_e32 v9, v9, v16, vcc
	v_cndmask_b32_e32 v8, v8, v11, vcc
	v_and_b32_e32 v5, v9, v5
	v_and_b32_e32 v4, v8, v4
	v_mul_lo_u32 v5, v5, 24
	v_mul_hi_u32 v11, v4, 24
	v_mul_lo_u32 v4, v4, 24
	v_add_u32_e32 v5, v11, v5
	s_waitcnt vmcnt(0)
	v_add_co_u32_e32 v4, vcc, v14, v4
	v_addc_co_u32_e32 v5, vcc, v15, v5, vcc
	v_mov_b32_e32 v10, v12
	global_store_dwordx2 v[4:5], v[12:13], off
	v_mov_b32_e32 v11, v13
	buffer_wbl2
	s_waitcnt vmcnt(0)
	global_atomic_cmpswap_x2 v[10:11], v31, v[8:11], s[10:11] offset:24 glc
	s_waitcnt vmcnt(0)
	v_cmp_ne_u64_e32 vcc, v[10:11], v[12:13]
	s_and_b64 exec, exec, vcc
	s_cbranch_execz .LBB1_29
; %bb.109:                              ;   in Loop: Header=BB1_30 Depth=1
	s_mov_b64 s[0:1], 0
.LBB1_110:                              ;   Parent Loop BB1_30 Depth=1
                                        ; =>  This Inner Loop Header: Depth=2
	s_sleep 1
	global_store_dwordx2 v[4:5], v[10:11], off
	buffer_wbl2
	s_waitcnt vmcnt(0)
	global_atomic_cmpswap_x2 v[12:13], v31, v[8:11], s[10:11] offset:24 glc
	s_waitcnt vmcnt(0)
	v_cmp_eq_u64_e32 vcc, v[12:13], v[10:11]
	s_or_b64 s[0:1], vcc, s[0:1]
	v_pk_mov_b32 v[10:11], v[12:13], v[12:13] op_sel:[0,1]
	s_andn2_b64 exec, exec, s[0:1]
	s_cbranch_execnz .LBB1_110
	s_branch .LBB1_29
.LBB1_111:
	s_branch .LBB1_139
.LBB1_112:
                                        ; implicit-def: $vgpr2_vgpr3
	s_cbranch_execz .LBB1_139
; %bb.113:
	v_readfirstlane_b32 s0, v35
	v_cmp_eq_u32_e64 s[0:1], s0, v35
	v_pk_mov_b32 v[8:9], 0, 0
	s_and_saveexec_b64 s[12:13], s[0:1]
	s_cbranch_execz .LBB1_119
; %bb.114:
	s_waitcnt vmcnt(0)
	v_mov_b32_e32 v2, 0
	global_load_dwordx2 v[6:7], v2, s[10:11] offset:24 glc
	s_waitcnt vmcnt(0)
	buffer_invl2
	buffer_wbinvl1_vol
	global_load_dwordx2 v[4:5], v2, s[10:11] offset:40
	global_load_dwordx2 v[8:9], v2, s[10:11]
	s_waitcnt vmcnt(1)
	v_and_b32_e32 v3, v4, v6
	v_and_b32_e32 v4, v5, v7
	v_mul_lo_u32 v4, v4, 24
	v_mul_hi_u32 v5, v3, 24
	v_mul_lo_u32 v3, v3, 24
	v_add_u32_e32 v5, v5, v4
	s_waitcnt vmcnt(0)
	v_add_co_u32_e32 v4, vcc, v8, v3
	v_addc_co_u32_e32 v5, vcc, v9, v5, vcc
	global_load_dwordx2 v[4:5], v[4:5], off glc
	s_waitcnt vmcnt(0)
	global_atomic_cmpswap_x2 v[8:9], v2, v[4:7], s[10:11] offset:24 glc
	s_waitcnt vmcnt(0)
	buffer_invl2
	buffer_wbinvl1_vol
	v_cmp_ne_u64_e32 vcc, v[8:9], v[6:7]
	s_and_saveexec_b64 s[14:15], vcc
	s_cbranch_execz .LBB1_118
; %bb.115:
	s_mov_b64 s[16:17], 0
.LBB1_116:                              ; =>This Inner Loop Header: Depth=1
	s_sleep 1
	global_load_dwordx2 v[4:5], v2, s[10:11] offset:40
	global_load_dwordx2 v[10:11], v2, s[10:11]
	v_pk_mov_b32 v[6:7], v[8:9], v[8:9] op_sel:[0,1]
	s_waitcnt vmcnt(1)
	v_and_b32_e32 v4, v4, v6
	v_and_b32_e32 v3, v5, v7
	s_waitcnt vmcnt(0)
	v_mad_u64_u32 v[4:5], s[18:19], v4, 24, v[10:11]
	v_mov_b32_e32 v8, v5
	v_mad_u64_u32 v[8:9], s[18:19], v3, 24, v[8:9]
	v_mov_b32_e32 v5, v8
	global_load_dwordx2 v[4:5], v[4:5], off glc
	s_waitcnt vmcnt(0)
	global_atomic_cmpswap_x2 v[8:9], v2, v[4:7], s[10:11] offset:24 glc
	s_waitcnt vmcnt(0)
	buffer_invl2
	buffer_wbinvl1_vol
	v_cmp_eq_u64_e32 vcc, v[8:9], v[6:7]
	s_or_b64 s[16:17], vcc, s[16:17]
	s_andn2_b64 exec, exec, s[16:17]
	s_cbranch_execnz .LBB1_116
; %bb.117:
	s_or_b64 exec, exec, s[16:17]
.LBB1_118:
	s_or_b64 exec, exec, s[14:15]
.LBB1_119:
	s_or_b64 exec, exec, s[12:13]
	s_waitcnt vmcnt(0)
	v_mov_b32_e32 v2, 0
	global_load_dwordx2 v[10:11], v2, s[10:11] offset:40
	global_load_dwordx4 v[4:7], v2, s[10:11]
	v_readfirstlane_b32 s12, v8
	v_readfirstlane_b32 s13, v9
	s_mov_b64 s[14:15], exec
	s_waitcnt vmcnt(1)
	v_readfirstlane_b32 s16, v10
	v_readfirstlane_b32 s17, v11
	s_and_b64 s[16:17], s[12:13], s[16:17]
	s_mul_i32 s18, s17, 24
	s_mul_hi_u32 s19, s16, 24
	s_mul_i32 s20, s16, 24
	s_add_i32 s18, s19, s18
	v_mov_b32_e32 v3, s18
	s_waitcnt vmcnt(0)
	v_add_co_u32_e32 v8, vcc, s20, v4
	v_addc_co_u32_e32 v9, vcc, v5, v3, vcc
	s_and_saveexec_b64 s[18:19], s[0:1]
	s_cbranch_execz .LBB1_121
; %bb.120:
	v_pk_mov_b32 v[10:11], s[14:15], s[14:15] op_sel:[0,1]
	v_mov_b32_e32 v12, 2
	v_mov_b32_e32 v13, 1
	global_store_dwordx4 v[8:9], v[10:13], off offset:8
.LBB1_121:
	s_or_b64 exec, exec, s[18:19]
	s_lshl_b64 s[14:15], s[16:17], 12
	v_mov_b32_e32 v3, s15
	v_add_co_u32_e32 v10, vcc, s14, v6
	v_addc_co_u32_e32 v11, vcc, v7, v3, vcc
	s_movk_i32 s14, 0xff1f
	s_mov_b32 s16, 0
	v_and_or_b32 v0, v0, s14, 32
	v_mov_b32_e32 v3, v2
	v_readfirstlane_b32 s14, v10
	v_readfirstlane_b32 s15, v11
	s_mov_b32 s17, s16
	v_add_co_u32_e32 v6, vcc, v10, v34
	s_mov_b32 s18, s16
	s_mov_b32 s19, s16
	s_nop 0
	global_store_dwordx4 v34, v[0:3], s[14:15]
	v_addc_co_u32_e32 v7, vcc, 0, v11, vcc
	v_pk_mov_b32 v[0:1], s[16:17], s[16:17] op_sel:[0,1]
	v_pk_mov_b32 v[2:3], s[18:19], s[18:19] op_sel:[0,1]
	global_store_dwordx4 v34, v[0:3], s[14:15] offset:16
	global_store_dwordx4 v34, v[0:3], s[14:15] offset:32
	global_store_dwordx4 v34, v[0:3], s[14:15] offset:48
	s_and_saveexec_b64 s[14:15], s[0:1]
	s_cbranch_execz .LBB1_129
; %bb.122:
	v_mov_b32_e32 v10, 0
	global_load_dwordx2 v[14:15], v10, s[10:11] offset:32 glc
	global_load_dwordx2 v[0:1], v10, s[10:11] offset:40
	v_mov_b32_e32 v12, s12
	v_mov_b32_e32 v13, s13
	s_waitcnt vmcnt(0)
	v_readfirstlane_b32 s16, v0
	v_readfirstlane_b32 s17, v1
	s_and_b64 s[16:17], s[16:17], s[12:13]
	s_mul_i32 s17, s17, 24
	s_mul_hi_u32 s18, s16, 24
	s_mul_i32 s16, s16, 24
	s_add_i32 s17, s18, s17
	v_mov_b32_e32 v0, s17
	v_add_co_u32_e32 v4, vcc, s16, v4
	v_addc_co_u32_e32 v5, vcc, v5, v0, vcc
	global_store_dwordx2 v[4:5], v[14:15], off
	buffer_wbl2
	s_waitcnt vmcnt(0)
	global_atomic_cmpswap_x2 v[2:3], v10, v[12:15], s[10:11] offset:32 glc
	s_waitcnt vmcnt(0)
	v_cmp_ne_u64_e32 vcc, v[2:3], v[14:15]
	s_and_saveexec_b64 s[16:17], vcc
	s_cbranch_execz .LBB1_125
; %bb.123:
	s_mov_b64 s[18:19], 0
.LBB1_124:                              ; =>This Inner Loop Header: Depth=1
	s_sleep 1
	global_store_dwordx2 v[4:5], v[2:3], off
	v_mov_b32_e32 v0, s12
	v_mov_b32_e32 v1, s13
	buffer_wbl2
	s_waitcnt vmcnt(0)
	global_atomic_cmpswap_x2 v[0:1], v10, v[0:3], s[10:11] offset:32 glc
	s_waitcnt vmcnt(0)
	v_cmp_eq_u64_e32 vcc, v[0:1], v[2:3]
	s_or_b64 s[18:19], vcc, s[18:19]
	v_pk_mov_b32 v[2:3], v[0:1], v[0:1] op_sel:[0,1]
	s_andn2_b64 exec, exec, s[18:19]
	s_cbranch_execnz .LBB1_124
.LBB1_125:
	s_or_b64 exec, exec, s[16:17]
	v_mov_b32_e32 v3, 0
	global_load_dwordx2 v[0:1], v3, s[10:11] offset:16
	s_mov_b64 s[16:17], exec
	v_mbcnt_lo_u32_b32 v2, s16, 0
	v_mbcnt_hi_u32_b32 v2, s17, v2
	v_cmp_eq_u32_e32 vcc, 0, v2
	s_and_saveexec_b64 s[18:19], vcc
	s_cbranch_execz .LBB1_127
; %bb.126:
	s_bcnt1_i32_b64 s16, s[16:17]
	v_mov_b32_e32 v2, s16
	buffer_wbl2
	s_waitcnt vmcnt(0)
	global_atomic_add_x2 v[0:1], v[2:3], off offset:8
.LBB1_127:
	s_or_b64 exec, exec, s[18:19]
	s_waitcnt vmcnt(0)
	global_load_dwordx2 v[2:3], v[0:1], off offset:16
	s_waitcnt vmcnt(0)
	v_cmp_eq_u64_e32 vcc, 0, v[2:3]
	s_cbranch_vccnz .LBB1_129
; %bb.128:
	global_load_dword v0, v[0:1], off offset:24
	v_mov_b32_e32 v1, 0
	buffer_wbl2
	s_waitcnt vmcnt(0)
	global_store_dwordx2 v[2:3], v[0:1], off
	v_and_b32_e32 v0, 0xffffff, v0
	v_readfirstlane_b32 m0, v0
	s_sendmsg sendmsg(MSG_INTERRUPT)
.LBB1_129:
	s_or_b64 exec, exec, s[14:15]
	s_branch .LBB1_133
.LBB1_130:                              ;   in Loop: Header=BB1_133 Depth=1
	s_or_b64 exec, exec, s[14:15]
	v_readfirstlane_b32 s14, v0
	s_cmp_eq_u32 s14, 0
	s_cbranch_scc1 .LBB1_132
; %bb.131:                              ;   in Loop: Header=BB1_133 Depth=1
	s_sleep 1
	s_cbranch_execnz .LBB1_133
	s_branch .LBB1_135
.LBB1_132:
	s_branch .LBB1_135
.LBB1_133:                              ; =>This Inner Loop Header: Depth=1
	v_mov_b32_e32 v0, 1
	s_and_saveexec_b64 s[14:15], s[0:1]
	s_cbranch_execz .LBB1_130
; %bb.134:                              ;   in Loop: Header=BB1_133 Depth=1
	global_load_dword v0, v[8:9], off offset:20 glc
	s_waitcnt vmcnt(0)
	buffer_invl2
	buffer_wbinvl1_vol
	v_and_b32_e32 v0, 1, v0
	s_branch .LBB1_130
.LBB1_135:
	global_load_dwordx2 v[2:3], v[6:7], off
	s_and_saveexec_b64 s[14:15], s[0:1]
	s_cbranch_execz .LBB1_138
; %bb.136:
	v_mov_b32_e32 v8, 0
	global_load_dwordx2 v[0:1], v8, s[10:11] offset:40
	global_load_dwordx2 v[10:11], v8, s[10:11] offset:24 glc
	global_load_dwordx2 v[12:13], v8, s[10:11]
	v_mov_b32_e32 v5, s13
	s_mov_b64 s[0:1], 0
	s_waitcnt vmcnt(2)
	v_add_co_u32_e32 v7, vcc, 1, v0
	v_addc_co_u32_e32 v9, vcc, 0, v1, vcc
	v_add_co_u32_e32 v4, vcc, s12, v7
	v_addc_co_u32_e32 v5, vcc, v9, v5, vcc
	v_cmp_eq_u64_e32 vcc, 0, v[4:5]
	v_cndmask_b32_e32 v5, v5, v9, vcc
	v_cndmask_b32_e32 v4, v4, v7, vcc
	v_and_b32_e32 v1, v5, v1
	v_and_b32_e32 v0, v4, v0
	v_mul_lo_u32 v1, v1, 24
	v_mul_hi_u32 v7, v0, 24
	v_mul_lo_u32 v0, v0, 24
	v_add_u32_e32 v1, v7, v1
	s_waitcnt vmcnt(0)
	v_add_co_u32_e32 v0, vcc, v12, v0
	v_addc_co_u32_e32 v1, vcc, v13, v1, vcc
	v_mov_b32_e32 v6, v10
	global_store_dwordx2 v[0:1], v[10:11], off
	v_mov_b32_e32 v7, v11
	buffer_wbl2
	s_waitcnt vmcnt(0)
	global_atomic_cmpswap_x2 v[6:7], v8, v[4:7], s[10:11] offset:24 glc
	s_waitcnt vmcnt(0)
	v_cmp_ne_u64_e32 vcc, v[6:7], v[10:11]
	s_and_b64 exec, exec, vcc
	s_cbranch_execz .LBB1_138
.LBB1_137:                              ; =>This Inner Loop Header: Depth=1
	s_sleep 1
	global_store_dwordx2 v[0:1], v[6:7], off
	buffer_wbl2
	s_waitcnt vmcnt(0)
	global_atomic_cmpswap_x2 v[10:11], v8, v[4:7], s[10:11] offset:24 glc
	s_waitcnt vmcnt(0)
	v_cmp_eq_u64_e32 vcc, v[10:11], v[6:7]
	s_or_b64 s[0:1], vcc, s[0:1]
	v_pk_mov_b32 v[6:7], v[10:11], v[10:11] op_sel:[0,1]
	s_andn2_b64 exec, exec, s[0:1]
	s_cbranch_execnz .LBB1_137
.LBB1_138:
	s_or_b64 exec, exec, s[14:15]
.LBB1_139:
	v_readfirstlane_b32 s0, v35
	v_cmp_eq_u32_e64 s[0:1], s0, v35
	s_waitcnt vmcnt(0)
	v_pk_mov_b32 v[0:1], 0, 0
	s_and_saveexec_b64 s[12:13], s[0:1]
	s_cbranch_execz .LBB1_145
; %bb.140:
	v_mov_b32_e32 v4, 0
	global_load_dwordx2 v[8:9], v4, s[10:11] offset:24 glc
	s_waitcnt vmcnt(0)
	buffer_invl2
	buffer_wbinvl1_vol
	global_load_dwordx2 v[0:1], v4, s[10:11] offset:40
	global_load_dwordx2 v[6:7], v4, s[10:11]
	s_waitcnt vmcnt(1)
	v_and_b32_e32 v0, v0, v8
	v_and_b32_e32 v1, v1, v9
	v_mul_lo_u32 v1, v1, 24
	v_mul_hi_u32 v5, v0, 24
	v_mul_lo_u32 v0, v0, 24
	v_add_u32_e32 v1, v5, v1
	s_waitcnt vmcnt(0)
	v_add_co_u32_e32 v0, vcc, v6, v0
	v_addc_co_u32_e32 v1, vcc, v7, v1, vcc
	global_load_dwordx2 v[6:7], v[0:1], off glc
	s_waitcnt vmcnt(0)
	global_atomic_cmpswap_x2 v[0:1], v4, v[6:9], s[10:11] offset:24 glc
	s_waitcnt vmcnt(0)
	buffer_invl2
	buffer_wbinvl1_vol
	v_cmp_ne_u64_e32 vcc, v[0:1], v[8:9]
	s_and_saveexec_b64 s[14:15], vcc
	s_cbranch_execz .LBB1_144
; %bb.141:
	s_mov_b64 s[16:17], 0
.LBB1_142:                              ; =>This Inner Loop Header: Depth=1
	s_sleep 1
	global_load_dwordx2 v[6:7], v4, s[10:11] offset:40
	global_load_dwordx2 v[10:11], v4, s[10:11]
	v_pk_mov_b32 v[8:9], v[0:1], v[0:1] op_sel:[0,1]
	s_waitcnt vmcnt(1)
	v_and_b32_e32 v0, v6, v8
	s_waitcnt vmcnt(0)
	v_mad_u64_u32 v[0:1], s[18:19], v0, 24, v[10:11]
	v_and_b32_e32 v5, v7, v9
	v_mov_b32_e32 v6, v1
	v_mad_u64_u32 v[6:7], s[18:19], v5, 24, v[6:7]
	v_mov_b32_e32 v1, v6
	global_load_dwordx2 v[6:7], v[0:1], off glc
	s_waitcnt vmcnt(0)
	global_atomic_cmpswap_x2 v[0:1], v4, v[6:9], s[10:11] offset:24 glc
	s_waitcnt vmcnt(0)
	buffer_invl2
	buffer_wbinvl1_vol
	v_cmp_eq_u64_e32 vcc, v[0:1], v[8:9]
	s_or_b64 s[16:17], vcc, s[16:17]
	s_andn2_b64 exec, exec, s[16:17]
	s_cbranch_execnz .LBB1_142
; %bb.143:
	s_or_b64 exec, exec, s[16:17]
.LBB1_144:
	s_or_b64 exec, exec, s[14:15]
.LBB1_145:
	s_or_b64 exec, exec, s[12:13]
	v_mov_b32_e32 v5, 0
	global_load_dwordx2 v[10:11], v5, s[10:11] offset:40
	global_load_dwordx4 v[6:9], v5, s[10:11]
	v_readfirstlane_b32 s12, v0
	v_readfirstlane_b32 s13, v1
	s_mov_b64 s[14:15], exec
	s_waitcnt vmcnt(1)
	v_readfirstlane_b32 s16, v10
	v_readfirstlane_b32 s17, v11
	s_and_b64 s[16:17], s[12:13], s[16:17]
	s_mul_i32 s18, s17, 24
	s_mul_hi_u32 s19, s16, 24
	s_mul_i32 s20, s16, 24
	s_add_i32 s18, s19, s18
	v_mov_b32_e32 v0, s18
	s_waitcnt vmcnt(0)
	v_add_co_u32_e32 v10, vcc, s20, v6
	v_addc_co_u32_e32 v11, vcc, v7, v0, vcc
	s_and_saveexec_b64 s[18:19], s[0:1]
	s_cbranch_execz .LBB1_147
; %bb.146:
	v_pk_mov_b32 v[12:13], s[14:15], s[14:15] op_sel:[0,1]
	v_mov_b32_e32 v14, 2
	v_mov_b32_e32 v15, 1
	global_store_dwordx4 v[10:11], v[12:15], off offset:8
.LBB1_147:
	s_or_b64 exec, exec, s[18:19]
	s_lshl_b64 s[14:15], s[16:17], 12
	v_add_co_u32_e32 v0, vcc, s14, v8
	s_mul_i32 s14, s26, s2
	s_sub_i32 s3, s3, s14
	v_mov_b32_e32 v1, s15
	s_add_i32 s14, s26, 1
	s_sub_i32 s15, s3, s2
	s_cmp_ge_u32 s3, s2
	s_cselect_b32 s14, s14, s26
	s_cselect_b32 s3, s15, s3
	s_add_i32 s15, s14, 1
	s_cmp_ge_u32 s3, s2
	v_addc_co_u32_e32 v1, vcc, v9, v1, vcc
	s_cselect_b32 s3, s15, s14
	s_mov_b32 s16, 0
	s_movk_i32 s14, 0xff1f
	v_and_or_b32 v2, v2, s14, 32
	v_add_co_u32_e32 v8, vcc, v0, v34
	v_mov_b32_e32 v4, s3
	v_readfirstlane_b32 s14, v0
	v_readfirstlane_b32 s15, v1
	s_mov_b32 s17, s16
	v_addc_co_u32_e32 v9, vcc, 0, v1, vcc
	s_mov_b32 s18, s16
	s_mov_b32 s19, s16
	s_nop 0
	global_store_dwordx4 v34, v[2:5], s[14:15]
	v_pk_mov_b32 v[0:1], s[16:17], s[16:17] op_sel:[0,1]
	v_pk_mov_b32 v[2:3], s[18:19], s[18:19] op_sel:[0,1]
	global_store_dwordx4 v34, v[0:3], s[14:15] offset:16
	global_store_dwordx4 v34, v[0:3], s[14:15] offset:32
	;; [unrolled: 1-line block ×3, first 2 shown]
	s_and_saveexec_b64 s[14:15], s[0:1]
	s_cbranch_execz .LBB1_155
; %bb.148:
	v_mov_b32_e32 v12, 0
	global_load_dwordx2 v[16:17], v12, s[10:11] offset:32 glc
	global_load_dwordx2 v[0:1], v12, s[10:11] offset:40
	v_mov_b32_e32 v14, s12
	v_mov_b32_e32 v15, s13
	s_waitcnt vmcnt(0)
	v_readfirstlane_b32 s16, v0
	v_readfirstlane_b32 s17, v1
	s_and_b64 s[16:17], s[16:17], s[12:13]
	s_mul_i32 s3, s17, 24
	s_mul_hi_u32 s17, s16, 24
	s_mul_i32 s16, s16, 24
	s_add_i32 s3, s17, s3
	v_mov_b32_e32 v0, s3
	v_add_co_u32_e32 v4, vcc, s16, v6
	v_addc_co_u32_e32 v5, vcc, v7, v0, vcc
	global_store_dwordx2 v[4:5], v[16:17], off
	buffer_wbl2
	s_waitcnt vmcnt(0)
	global_atomic_cmpswap_x2 v[2:3], v12, v[14:17], s[10:11] offset:32 glc
	s_waitcnt vmcnt(0)
	v_cmp_ne_u64_e32 vcc, v[2:3], v[16:17]
	s_and_saveexec_b64 s[16:17], vcc
	s_cbranch_execz .LBB1_151
; %bb.149:
	s_mov_b64 s[18:19], 0
.LBB1_150:                              ; =>This Inner Loop Header: Depth=1
	s_sleep 1
	global_store_dwordx2 v[4:5], v[2:3], off
	v_mov_b32_e32 v0, s12
	v_mov_b32_e32 v1, s13
	buffer_wbl2
	s_waitcnt vmcnt(0)
	global_atomic_cmpswap_x2 v[0:1], v12, v[0:3], s[10:11] offset:32 glc
	s_waitcnt vmcnt(0)
	v_cmp_eq_u64_e32 vcc, v[0:1], v[2:3]
	s_or_b64 s[18:19], vcc, s[18:19]
	v_pk_mov_b32 v[2:3], v[0:1], v[0:1] op_sel:[0,1]
	s_andn2_b64 exec, exec, s[18:19]
	s_cbranch_execnz .LBB1_150
.LBB1_151:
	s_or_b64 exec, exec, s[16:17]
	v_mov_b32_e32 v3, 0
	global_load_dwordx2 v[0:1], v3, s[10:11] offset:16
	s_mov_b64 s[16:17], exec
	v_mbcnt_lo_u32_b32 v2, s16, 0
	v_mbcnt_hi_u32_b32 v2, s17, v2
	v_cmp_eq_u32_e32 vcc, 0, v2
	s_and_saveexec_b64 s[18:19], vcc
	s_cbranch_execz .LBB1_153
; %bb.152:
	s_bcnt1_i32_b64 s3, s[16:17]
	v_mov_b32_e32 v2, s3
	buffer_wbl2
	s_waitcnt vmcnt(0)
	global_atomic_add_x2 v[0:1], v[2:3], off offset:8
.LBB1_153:
	s_or_b64 exec, exec, s[18:19]
	s_waitcnt vmcnt(0)
	global_load_dwordx2 v[2:3], v[0:1], off offset:16
	s_waitcnt vmcnt(0)
	v_cmp_eq_u64_e32 vcc, 0, v[2:3]
	s_cbranch_vccnz .LBB1_155
; %bb.154:
	global_load_dword v0, v[0:1], off offset:24
	v_mov_b32_e32 v1, 0
	buffer_wbl2
	s_waitcnt vmcnt(0)
	global_store_dwordx2 v[2:3], v[0:1], off
	v_and_b32_e32 v0, 0xffffff, v0
	v_readfirstlane_b32 m0, v0
	s_sendmsg sendmsg(MSG_INTERRUPT)
.LBB1_155:
	s_or_b64 exec, exec, s[14:15]
	s_branch .LBB1_159
.LBB1_156:                              ;   in Loop: Header=BB1_159 Depth=1
	s_or_b64 exec, exec, s[14:15]
	v_readfirstlane_b32 s3, v0
	s_cmp_eq_u32 s3, 0
	s_cbranch_scc1 .LBB1_158
; %bb.157:                              ;   in Loop: Header=BB1_159 Depth=1
	s_sleep 1
	s_cbranch_execnz .LBB1_159
	s_branch .LBB1_161
.LBB1_158:
	s_branch .LBB1_161
.LBB1_159:                              ; =>This Inner Loop Header: Depth=1
	v_mov_b32_e32 v0, 1
	s_and_saveexec_b64 s[14:15], s[0:1]
	s_cbranch_execz .LBB1_156
; %bb.160:                              ;   in Loop: Header=BB1_159 Depth=1
	global_load_dword v0, v[10:11], off offset:20 glc
	s_waitcnt vmcnt(0)
	buffer_invl2
	buffer_wbinvl1_vol
	v_and_b32_e32 v0, 1, v0
	s_branch .LBB1_156
.LBB1_161:
	global_load_dwordx2 v[0:1], v[8:9], off
	s_and_saveexec_b64 s[14:15], s[0:1]
	s_cbranch_execz .LBB1_164
; %bb.162:
	v_mov_b32_e32 v8, 0
	global_load_dwordx2 v[6:7], v8, s[10:11] offset:40
	global_load_dwordx2 v[10:11], v8, s[10:11] offset:24 glc
	global_load_dwordx2 v[12:13], v8, s[10:11]
	v_mov_b32_e32 v3, s13
	s_mov_b64 s[0:1], 0
	s_waitcnt vmcnt(2)
	v_add_co_u32_e32 v5, vcc, 1, v6
	v_addc_co_u32_e32 v9, vcc, 0, v7, vcc
	v_add_co_u32_e32 v2, vcc, s12, v5
	v_addc_co_u32_e32 v3, vcc, v9, v3, vcc
	v_cmp_eq_u64_e32 vcc, 0, v[2:3]
	v_cndmask_b32_e32 v3, v3, v9, vcc
	v_cndmask_b32_e32 v2, v2, v5, vcc
	v_and_b32_e32 v5, v3, v7
	v_and_b32_e32 v6, v2, v6
	v_mul_lo_u32 v5, v5, 24
	v_mul_hi_u32 v7, v6, 24
	v_mul_lo_u32 v6, v6, 24
	v_add_u32_e32 v5, v7, v5
	s_waitcnt vmcnt(0)
	v_add_co_u32_e32 v6, vcc, v12, v6
	v_addc_co_u32_e32 v7, vcc, v13, v5, vcc
	v_mov_b32_e32 v4, v10
	global_store_dwordx2 v[6:7], v[10:11], off
	v_mov_b32_e32 v5, v11
	buffer_wbl2
	s_waitcnt vmcnt(0)
	global_atomic_cmpswap_x2 v[4:5], v8, v[2:5], s[10:11] offset:24 glc
	s_waitcnt vmcnt(0)
	v_cmp_ne_u64_e32 vcc, v[4:5], v[10:11]
	s_and_b64 exec, exec, vcc
	s_cbranch_execz .LBB1_164
.LBB1_163:                              ; =>This Inner Loop Header: Depth=1
	s_sleep 1
	global_store_dwordx2 v[6:7], v[4:5], off
	buffer_wbl2
	s_waitcnt vmcnt(0)
	global_atomic_cmpswap_x2 v[10:11], v8, v[2:5], s[10:11] offset:24 glc
	s_waitcnt vmcnt(0)
	v_cmp_eq_u64_e32 vcc, v[10:11], v[4:5]
	s_or_b64 s[0:1], vcc, s[0:1]
	v_pk_mov_b32 v[4:5], v[10:11], v[10:11] op_sel:[0,1]
	s_andn2_b64 exec, exec, s[0:1]
	s_cbranch_execnz .LBB1_163
.LBB1_164:
	s_or_b64 exec, exec, s[14:15]
	v_readfirstlane_b32 s0, v35
	v_cmp_eq_u32_e64 s[0:1], s0, v35
	v_pk_mov_b32 v[8:9], 0, 0
	s_and_saveexec_b64 s[12:13], s[0:1]
	s_cbranch_execz .LBB1_170
; %bb.165:
	v_mov_b32_e32 v2, 0
	global_load_dwordx2 v[6:7], v2, s[10:11] offset:24 glc
	s_waitcnt vmcnt(0)
	buffer_invl2
	buffer_wbinvl1_vol
	global_load_dwordx2 v[4:5], v2, s[10:11] offset:40
	global_load_dwordx2 v[8:9], v2, s[10:11]
	s_waitcnt vmcnt(1)
	v_and_b32_e32 v3, v4, v6
	v_and_b32_e32 v4, v5, v7
	v_mul_lo_u32 v4, v4, 24
	v_mul_hi_u32 v5, v3, 24
	v_mul_lo_u32 v3, v3, 24
	v_add_u32_e32 v5, v5, v4
	s_waitcnt vmcnt(0)
	v_add_co_u32_e32 v4, vcc, v8, v3
	v_addc_co_u32_e32 v5, vcc, v9, v5, vcc
	global_load_dwordx2 v[4:5], v[4:5], off glc
	s_waitcnt vmcnt(0)
	global_atomic_cmpswap_x2 v[8:9], v2, v[4:7], s[10:11] offset:24 glc
	s_waitcnt vmcnt(0)
	buffer_invl2
	buffer_wbinvl1_vol
	v_cmp_ne_u64_e32 vcc, v[8:9], v[6:7]
	s_and_saveexec_b64 s[14:15], vcc
	s_cbranch_execz .LBB1_169
; %bb.166:
	s_mov_b64 s[16:17], 0
.LBB1_167:                              ; =>This Inner Loop Header: Depth=1
	s_sleep 1
	global_load_dwordx2 v[4:5], v2, s[10:11] offset:40
	global_load_dwordx2 v[10:11], v2, s[10:11]
	v_pk_mov_b32 v[6:7], v[8:9], v[8:9] op_sel:[0,1]
	s_waitcnt vmcnt(1)
	v_and_b32_e32 v4, v4, v6
	v_and_b32_e32 v3, v5, v7
	s_waitcnt vmcnt(0)
	v_mad_u64_u32 v[4:5], s[18:19], v4, 24, v[10:11]
	v_mov_b32_e32 v8, v5
	v_mad_u64_u32 v[8:9], s[18:19], v3, 24, v[8:9]
	v_mov_b32_e32 v5, v8
	global_load_dwordx2 v[4:5], v[4:5], off glc
	s_waitcnt vmcnt(0)
	global_atomic_cmpswap_x2 v[8:9], v2, v[4:7], s[10:11] offset:24 glc
	s_waitcnt vmcnt(0)
	buffer_invl2
	buffer_wbinvl1_vol
	v_cmp_eq_u64_e32 vcc, v[8:9], v[6:7]
	s_or_b64 s[16:17], vcc, s[16:17]
	s_andn2_b64 exec, exec, s[16:17]
	s_cbranch_execnz .LBB1_167
; %bb.168:
	s_or_b64 exec, exec, s[16:17]
.LBB1_169:
	s_or_b64 exec, exec, s[14:15]
.LBB1_170:
	s_or_b64 exec, exec, s[12:13]
	v_mov_b32_e32 v3, 0
	global_load_dwordx2 v[10:11], v3, s[10:11] offset:40
	global_load_dwordx4 v[4:7], v3, s[10:11]
	v_readfirstlane_b32 s12, v8
	v_readfirstlane_b32 s13, v9
	s_mov_b64 s[14:15], exec
	s_waitcnt vmcnt(1)
	v_readfirstlane_b32 s16, v10
	v_readfirstlane_b32 s17, v11
	s_and_b64 s[16:17], s[12:13], s[16:17]
	s_mul_i32 s3, s17, 24
	s_mul_hi_u32 s18, s16, 24
	s_mul_i32 s19, s16, 24
	s_add_i32 s3, s18, s3
	v_mov_b32_e32 v2, s3
	s_waitcnt vmcnt(0)
	v_add_co_u32_e32 v8, vcc, s19, v4
	v_addc_co_u32_e32 v9, vcc, v5, v2, vcc
	s_and_saveexec_b64 s[18:19], s[0:1]
	s_cbranch_execz .LBB1_172
; %bb.171:
	v_pk_mov_b32 v[10:11], s[14:15], s[14:15] op_sel:[0,1]
	v_mov_b32_e32 v12, 2
	v_mov_b32_e32 v13, 1
	global_store_dwordx4 v[8:9], v[10:13], off offset:8
.LBB1_172:
	s_or_b64 exec, exec, s[18:19]
	s_lshl_b64 s[14:15], s[16:17], 12
	v_mov_b32_e32 v2, s15
	v_add_co_u32_e32 v6, vcc, s14, v6
	v_addc_co_u32_e32 v7, vcc, v7, v2, vcc
	s_mov_b32 s16, 0
	s_movk_i32 s3, 0xff1d
	v_and_or_b32 v0, v0, s3, 34
	v_mov_b32_e32 v2, s2
	v_readfirstlane_b32 s14, v6
	v_readfirstlane_b32 s15, v7
	s_mov_b32 s17, s16
	s_mov_b32 s18, s16
	;; [unrolled: 1-line block ×3, first 2 shown]
	s_nop 1
	global_store_dwordx4 v34, v[0:3], s[14:15]
	s_nop 0
	v_pk_mov_b32 v[0:1], s[16:17], s[16:17] op_sel:[0,1]
	v_pk_mov_b32 v[2:3], s[18:19], s[18:19] op_sel:[0,1]
	global_store_dwordx4 v34, v[0:3], s[14:15] offset:16
	global_store_dwordx4 v34, v[0:3], s[14:15] offset:32
	;; [unrolled: 1-line block ×3, first 2 shown]
	s_and_saveexec_b64 s[14:15], s[0:1]
	s_cbranch_execz .LBB1_180
; %bb.173:
	v_mov_b32_e32 v6, 0
	global_load_dwordx2 v[12:13], v6, s[10:11] offset:32 glc
	global_load_dwordx2 v[0:1], v6, s[10:11] offset:40
	v_mov_b32_e32 v10, s12
	v_mov_b32_e32 v11, s13
	s_waitcnt vmcnt(0)
	v_readfirstlane_b32 s16, v0
	v_readfirstlane_b32 s17, v1
	s_and_b64 s[16:17], s[16:17], s[12:13]
	s_mul_i32 s3, s17, 24
	s_mul_hi_u32 s17, s16, 24
	s_mul_i32 s16, s16, 24
	s_add_i32 s3, s17, s3
	v_mov_b32_e32 v0, s3
	v_add_co_u32_e32 v4, vcc, s16, v4
	v_addc_co_u32_e32 v5, vcc, v5, v0, vcc
	global_store_dwordx2 v[4:5], v[12:13], off
	buffer_wbl2
	s_waitcnt vmcnt(0)
	global_atomic_cmpswap_x2 v[2:3], v6, v[10:13], s[10:11] offset:32 glc
	s_waitcnt vmcnt(0)
	v_cmp_ne_u64_e32 vcc, v[2:3], v[12:13]
	s_and_saveexec_b64 s[16:17], vcc
	s_cbranch_execz .LBB1_176
; %bb.174:
	s_mov_b64 s[18:19], 0
.LBB1_175:                              ; =>This Inner Loop Header: Depth=1
	s_sleep 1
	global_store_dwordx2 v[4:5], v[2:3], off
	v_mov_b32_e32 v0, s12
	v_mov_b32_e32 v1, s13
	buffer_wbl2
	s_waitcnt vmcnt(0)
	global_atomic_cmpswap_x2 v[0:1], v6, v[0:3], s[10:11] offset:32 glc
	s_waitcnt vmcnt(0)
	v_cmp_eq_u64_e32 vcc, v[0:1], v[2:3]
	s_or_b64 s[18:19], vcc, s[18:19]
	v_pk_mov_b32 v[2:3], v[0:1], v[0:1] op_sel:[0,1]
	s_andn2_b64 exec, exec, s[18:19]
	s_cbranch_execnz .LBB1_175
.LBB1_176:
	s_or_b64 exec, exec, s[16:17]
	v_mov_b32_e32 v3, 0
	global_load_dwordx2 v[0:1], v3, s[10:11] offset:16
	s_mov_b64 s[16:17], exec
	v_mbcnt_lo_u32_b32 v2, s16, 0
	v_mbcnt_hi_u32_b32 v2, s17, v2
	v_cmp_eq_u32_e32 vcc, 0, v2
	s_and_saveexec_b64 s[18:19], vcc
	s_cbranch_execz .LBB1_178
; %bb.177:
	s_bcnt1_i32_b64 s3, s[16:17]
	v_mov_b32_e32 v2, s3
	buffer_wbl2
	s_waitcnt vmcnt(0)
	global_atomic_add_x2 v[0:1], v[2:3], off offset:8
.LBB1_178:
	s_or_b64 exec, exec, s[18:19]
	s_waitcnt vmcnt(0)
	global_load_dwordx2 v[2:3], v[0:1], off offset:16
	s_waitcnt vmcnt(0)
	v_cmp_eq_u64_e32 vcc, 0, v[2:3]
	s_cbranch_vccnz .LBB1_180
; %bb.179:
	global_load_dword v0, v[0:1], off offset:24
	v_mov_b32_e32 v1, 0
	buffer_wbl2
	s_waitcnt vmcnt(0)
	global_store_dwordx2 v[2:3], v[0:1], off
	v_and_b32_e32 v0, 0xffffff, v0
	v_readfirstlane_b32 m0, v0
	s_sendmsg sendmsg(MSG_INTERRUPT)
.LBB1_180:
	s_or_b64 exec, exec, s[14:15]
	s_branch .LBB1_184
.LBB1_181:                              ;   in Loop: Header=BB1_184 Depth=1
	s_or_b64 exec, exec, s[14:15]
	v_readfirstlane_b32 s3, v0
	s_cmp_eq_u32 s3, 0
	s_cbranch_scc1 .LBB1_183
; %bb.182:                              ;   in Loop: Header=BB1_184 Depth=1
	s_sleep 1
	s_cbranch_execnz .LBB1_184
	s_branch .LBB1_186
.LBB1_183:
	s_branch .LBB1_186
.LBB1_184:                              ; =>This Inner Loop Header: Depth=1
	v_mov_b32_e32 v0, 1
	s_and_saveexec_b64 s[14:15], s[0:1]
	s_cbranch_execz .LBB1_181
; %bb.185:                              ;   in Loop: Header=BB1_184 Depth=1
	global_load_dword v0, v[8:9], off offset:20 glc
	s_waitcnt vmcnt(0)
	buffer_invl2
	buffer_wbinvl1_vol
	v_and_b32_e32 v0, 1, v0
	s_branch .LBB1_181
.LBB1_186:
	s_and_b64 exec, exec, s[0:1]
	s_cbranch_execz .LBB1_189
; %bb.187:
	v_mov_b32_e32 v6, 0
	global_load_dwordx2 v[4:5], v6, s[10:11] offset:40
	global_load_dwordx2 v[8:9], v6, s[10:11] offset:24 glc
	global_load_dwordx2 v[10:11], v6, s[10:11]
	v_mov_b32_e32 v1, s13
	s_mov_b64 s[0:1], 0
	s_waitcnt vmcnt(2)
	v_add_co_u32_e32 v3, vcc, 1, v4
	v_addc_co_u32_e32 v7, vcc, 0, v5, vcc
	v_add_co_u32_e32 v0, vcc, s12, v3
	v_addc_co_u32_e32 v1, vcc, v7, v1, vcc
	v_cmp_eq_u64_e32 vcc, 0, v[0:1]
	v_cndmask_b32_e32 v1, v1, v7, vcc
	v_cndmask_b32_e32 v0, v0, v3, vcc
	v_and_b32_e32 v3, v1, v5
	v_and_b32_e32 v4, v0, v4
	v_mul_lo_u32 v3, v3, 24
	v_mul_hi_u32 v5, v4, 24
	v_mul_lo_u32 v4, v4, 24
	v_add_u32_e32 v3, v5, v3
	s_waitcnt vmcnt(0)
	v_add_co_u32_e32 v4, vcc, v10, v4
	v_addc_co_u32_e32 v5, vcc, v11, v3, vcc
	v_mov_b32_e32 v2, v8
	global_store_dwordx2 v[4:5], v[8:9], off
	v_mov_b32_e32 v3, v9
	buffer_wbl2
	s_waitcnt vmcnt(0)
	global_atomic_cmpswap_x2 v[2:3], v6, v[0:3], s[10:11] offset:24 glc
	s_waitcnt vmcnt(0)
	v_cmp_ne_u64_e32 vcc, v[2:3], v[8:9]
	s_and_b64 exec, exec, vcc
	s_cbranch_execz .LBB1_189
.LBB1_188:                              ; =>This Inner Loop Header: Depth=1
	s_sleep 1
	global_store_dwordx2 v[4:5], v[2:3], off
	buffer_wbl2
	s_waitcnt vmcnt(0)
	global_atomic_cmpswap_x2 v[8:9], v6, v[0:3], s[10:11] offset:24 glc
	s_waitcnt vmcnt(0)
	v_cmp_eq_u64_e32 vcc, v[8:9], v[2:3]
	s_or_b64 s[0:1], vcc, s[0:1]
	v_pk_mov_b32 v[2:3], v[8:9], v[8:9] op_sel:[0,1]
	s_andn2_b64 exec, exec, s[0:1]
	s_cbranch_execnz .LBB1_188
.LBB1_189:
	s_or_b64 exec, exec, s[8:9]
	s_bcnt1_i32_b32 s0, s2
	s_cmp_lg_u32 s0, 1
	s_waitcnt vmcnt(0) lgkmcnt(0)
	buffer_wbinvl1_vol
	s_cbranch_scc1 .LBB1_200
; %bb.190:
	v_cvt_f32_u32_e32 v0, s2
	s_sub_i32 s0, 0, s2
	s_mov_b32 s9, 0
	v_mov_b32_e32 v2, 0
	v_rcp_iflag_f32_e32 v0, v0
	s_mov_b32 s3, 0
	v_mul_f32_e32 v0, 0x4f7ffffe, v0
	v_cvt_u32_f32_e32 v3, v0
	v_pk_mov_b32 v[0:1], 0, 0
	v_mul_lo_u32 v4, s0, v3
	v_mul_hi_u32 v4, v3, v4
	v_add_u32_e32 v3, v3, v4
	v_mul_hi_u32 v3, v29, v3
	v_mul_lo_u32 v3, v3, s2
	v_sub_u32_e32 v3, v29, v3
	v_subrev_u32_e32 v4, s2, v3
	v_cmp_le_u32_e32 vcc, s2, v3
	v_cndmask_b32_e32 v3, v3, v4, vcc
	v_subrev_u32_e32 v4, s2, v3
	v_cmp_le_u32_e32 vcc, s2, v3
	v_cndmask_b32_e32 v3, v3, v4, vcc
	v_sub_u32_e32 v3, v29, v3
	s_branch .LBB1_192
.LBB1_191:                              ;   in Loop: Header=BB1_192 Depth=1
	s_add_i32 s3, s3, 4
	s_cmp_eq_u32 s3, 64
	s_cbranch_scc1 .LBB1_201
.LBB1_192:                              ; =>This Inner Loop Header: Depth=1
	s_lshl_b32 s8, 1, s3
	s_and_b64 s[10:11], s[6:7], s[8:9]
	s_cmp_eq_u64 s[10:11], 0
	s_cbranch_scc1 .LBB1_194
; %bb.193:                              ;   in Loop: Header=BB1_192 Depth=1
	v_cmp_gt_i32_e32 vcc, 1, v3
	v_cmp_gt_u32_e64 s[0:1], s2, v2
	v_mov_b32_e32 v4, s11
	s_and_b64 vcc, vcc, s[0:1]
	v_mov_b32_e32 v5, s10
	v_cndmask_b32_e32 v4, 0, v4, vcc
	v_cndmask_b32_e32 v5, 0, v5, vcc
	v_or_b32_e32 v1, v4, v1
	v_or_b32_e32 v0, v5, v0
	v_addc_co_u32_e32 v2, vcc, 0, v2, vcc
	v_add_u32_e32 v3, -1, v3
.LBB1_194:                              ;   in Loop: Header=BB1_192 Depth=1
	s_lshl_b32 s8, 2, s3
	s_and_b64 s[10:11], s[6:7], s[8:9]
	s_cmp_eq_u64 s[10:11], 0
	s_cbranch_scc1 .LBB1_196
; %bb.195:                              ;   in Loop: Header=BB1_192 Depth=1
	v_cmp_gt_i32_e32 vcc, 1, v3
	v_cmp_gt_u32_e64 s[0:1], s2, v2
	v_mov_b32_e32 v4, s11
	s_and_b64 vcc, vcc, s[0:1]
	v_mov_b32_e32 v5, s10
	v_cndmask_b32_e32 v4, 0, v4, vcc
	v_cndmask_b32_e32 v5, 0, v5, vcc
	v_or_b32_e32 v1, v4, v1
	v_or_b32_e32 v0, v5, v0
	v_addc_co_u32_e32 v2, vcc, 0, v2, vcc
	v_add_u32_e32 v3, -1, v3
.LBB1_196:                              ;   in Loop: Header=BB1_192 Depth=1
	;; [unrolled: 17-line block ×3, first 2 shown]
	s_lshl_b32 s0, 8, s3
	s_ashr_i32 s1, s0, 31
	s_and_b64 s[10:11], s[6:7], s[0:1]
	s_cmp_eq_u64 s[10:11], 0
	s_cbranch_scc1 .LBB1_191
; %bb.199:                              ;   in Loop: Header=BB1_192 Depth=1
	v_cmp_gt_i32_e32 vcc, 1, v3
	v_cmp_gt_u32_e64 s[0:1], s2, v2
	v_mov_b32_e32 v4, s11
	s_and_b64 vcc, vcc, s[0:1]
	v_mov_b32_e32 v5, s10
	v_cndmask_b32_e32 v4, 0, v4, vcc
	v_cndmask_b32_e32 v5, 0, v5, vcc
	v_or_b32_e32 v1, v4, v1
	v_or_b32_e32 v0, v5, v0
	v_addc_co_u32_e32 v2, vcc, 0, v2, vcc
	v_add_u32_e32 v3, -1, v3
	s_branch .LBB1_191
.LBB1_200:
	v_pk_mov_b32 v[0:1], 0, 0
	v_mov_b32_e32 v6, 0
	s_branch .LBB1_202
.LBB1_201:
	v_bcnt_u32_b32 v2, v0, 0
	v_bcnt_u32_b32 v6, v1, v2
.LBB1_202:
	v_mbcnt_lo_u32_b32 v2, v0, 0
	v_mbcnt_hi_u32_b32 v7, v1, v2
	s_mov_b32 s12, 1
	v_cmp_lt_u32_e32 vcc, 1, v6
	s_and_saveexec_b64 s[2:3], vcc
	s_cbranch_execz .LBB1_212
; %bb.203:
	v_mbcnt_lo_u32_b32 v2, -1, 0
	v_mbcnt_hi_u32_b32 v8, -1, v2
	v_cmp_ne_u32_e32 vcc, 64, v6
	v_bfrev_b32_e32 v3, v0
	v_bfrev_b32_e32 v2, v1
	v_sub_u32_e32 v9, 63, v8
	v_and_b32_e32 v10, 64, v8
	s_mov_b64 s[6:7], 0
	v_mov_b32_e32 v11, v7
	s_branch .LBB1_205
.LBB1_204:                              ;   in Loop: Header=BB1_205 Depth=1
	s_or_b64 exec, exec, s[8:9]
	v_cmp_le_i32_e64 s[0:1], s12, v7
	s_lshl_b32 s12, s12, 1
	s_waitcnt lgkmcnt(0)
	v_cndmask_b32_e64 v4, 0, v4, s[0:1]
	v_cmp_ge_i32_e64 s[0:1], s12, v6
	s_or_b64 s[6:7], s[0:1], s[6:7]
	v_add_u32_e32 v11, v4, v11
	s_andn2_b64 exec, exec, s[6:7]
	s_cbranch_execz .LBB1_211
.LBB1_205:                              ; =>This Inner Loop Header: Depth=1
                                        ; implicit-def: $vgpr4
	s_and_saveexec_b64 s[0:1], vcc
	s_xor_b64 s[8:9], exec, s[0:1]
	s_cbranch_execz .LBB1_209
; %bb.206:                              ;   in Loop: Header=BB1_205 Depth=1
	s_add_i32 s13, s12, 1
	s_not_b32 s14, s12
	s_cmp_gt_i32 s12, -1
	s_cselect_b64 s[0:1], -1, 0
	v_cndmask_b32_e64 v4, v8, v9, s[0:1]
	v_cndmask_b32_e64 v13, v0, v2, s[0:1]
	v_lshlrev_b64 v[4:5], v4, -1
	v_cndmask_b32_e64 v12, v1, v3, s[0:1]
	v_and_b32_e32 v4, v4, v13
	s_and_b64 s[10:11], s[0:1], exec
	v_and_b32_e32 v5, v5, v12
	v_bcnt_u32_b32 v12, v4, 0
	s_cselect_b32 s13, s13, s14
	v_bcnt_u32_b32 v12, v5, v12
	v_cmp_le_u32_e64 s[0:1], s13, v12
	v_mov_b32_e32 v12, -1
	s_and_saveexec_b64 s[10:11], s[0:1]
	s_cbranch_execz .LBB1_208
; %bb.207:                              ;   in Loop: Header=BB1_205 Depth=1
	v_bcnt_u32_b32 v12, v4, 0
	v_cmp_gt_u32_e64 s[0:1], s13, v12
	v_cndmask_b32_e64 v4, v4, v5, s[0:1]
	v_cndmask_b32_e64 v5, 0, v12, s[0:1]
	v_and_b32_e32 v13, 0xffff, v4
	v_sub_u32_e32 v5, s13, v5
	v_bcnt_u32_b32 v14, v13, 0
	v_cndmask_b32_e64 v12, 0, 1, s[0:1]
	v_lshrrev_b32_e32 v4, 16, v4
	v_cmp_gt_i32_e64 s[0:1], v5, v14
	v_cndmask_b32_e64 v4, v13, v4, s[0:1]
	v_cndmask_b32_e64 v13, 0, v14, s[0:1]
	v_lshlrev_b32_e32 v12, 5, v12
	v_sub_u32_e32 v5, v5, v13
	v_cndmask_b32_e64 v13, 0, 1, s[0:1]
	v_lshl_or_b32 v12, v13, 4, v12
	v_and_b32_e32 v13, 0xff, v4
	v_bcnt_u32_b32 v14, v13, 0
	v_lshrrev_b32_e32 v4, 8, v4
	v_cmp_gt_i32_e64 s[0:1], v5, v14
	v_cndmask_b32_e64 v4, v13, v4, s[0:1]
	v_cndmask_b32_e64 v13, 0, v14, s[0:1]
	v_and_b32_e32 v14, 15, v4
	v_sub_u32_e32 v5, v5, v13
	v_bcnt_u32_b32 v15, v14, 0
	v_cndmask_b32_e64 v13, 0, 1, s[0:1]
	v_lshrrev_b32_e32 v4, 4, v4
	v_cmp_gt_i32_e64 s[0:1], v5, v15
	v_cndmask_b32_e64 v4, v14, v4, s[0:1]
	v_cndmask_b32_e64 v14, 0, v15, s[0:1]
	v_sub_u32_e32 v5, v5, v14
	v_cndmask_b32_e64 v14, 0, 1, s[0:1]
	v_lshlrev_b32_e32 v13, 3, v13
	v_lshlrev_b32_e32 v14, 2, v14
	v_or3_b32 v12, v12, v13, v14
	v_and_b32_e32 v13, 3, v4
	v_bcnt_u32_b32 v13, v13, 0
	v_lshrrev_b32_e32 v14, 2, v4
	v_cmp_gt_i32_e64 s[0:1], v5, v13
	v_cndmask_b32_e64 v13, 0, v13, s[0:1]
	v_cndmask_b32_e64 v4, v4, v14, s[0:1]
	v_sub_u32_e32 v5, v5, v13
	v_and_b32_e32 v4, 1, v4
	v_cndmask_b32_e64 v13, 0, 1, s[0:1]
	v_cmp_gt_i32_e64 s[0:1], v5, v4
	v_lshlrev_b32_e32 v13, 1, v13
	v_cndmask_b32_e64 v4, 0, 1, s[0:1]
	v_or3_b32 v4, v12, v13, v4
	s_cmp_lt_i32 s12, 0
	v_xor_b32_e32 v5, 63, v4
	s_cselect_b64 s[0:1], -1, 0
	v_cndmask_b32_e64 v12, v5, v4, s[0:1]
.LBB1_208:                              ;   in Loop: Header=BB1_205 Depth=1
	s_or_b64 exec, exec, s[10:11]
	v_cmp_eq_u32_e64 s[0:1], -1, v12
	v_cndmask_b32_e64 v4, v12, v8, s[0:1]
	v_and_or_b32 v4, v4, 63, v10
	v_lshlrev_b32_e32 v4, 2, v4
	ds_bpermute_b32 v4, v4, v11
.LBB1_209:                              ;   in Loop: Header=BB1_205 Depth=1
	s_andn2_saveexec_b64 s[8:9], s[8:9]
	s_cbranch_execz .LBB1_204
; %bb.210:                              ;   in Loop: Header=BB1_205 Depth=1
	s_waitcnt lgkmcnt(0)
	v_subrev_u32_e32 v4, s12, v8
	v_cmp_lt_i32_e64 s[0:1], v4, v10
	v_cndmask_b32_e64 v4, v4, v8, s[0:1]
	v_lshlrev_b32_e32 v4, 2, v4
	ds_bpermute_b32 v4, v4, v11
	s_branch .LBB1_204
.LBB1_211:
	s_or_b64 exec, exec, s[6:7]
	v_mov_b32_e32 v7, v11
.LBB1_212:
	s_or_b64 exec, exec, s[2:3]
	s_load_dwordx2 s[0:1], s[4:5], 0x0
	v_lshlrev_b32_e32 v0, 2, v29
	s_waitcnt lgkmcnt(0)
	global_store_dword v0, v7, s[0:1]
.LBB1_213:
	s_endpgm
	.section	.rodata,"a",@progbits
	.p2align	6, 0x0
	.amdhsa_kernel _Z33kernel_cg_group_partition_shfl_upPiji
		.amdhsa_group_segment_fixed_size 0
		.amdhsa_private_segment_fixed_size 0
		.amdhsa_kernarg_size 272
		.amdhsa_user_sgpr_count 6
		.amdhsa_user_sgpr_private_segment_buffer 1
		.amdhsa_user_sgpr_dispatch_ptr 0
		.amdhsa_user_sgpr_queue_ptr 0
		.amdhsa_user_sgpr_kernarg_segment_ptr 1
		.amdhsa_user_sgpr_dispatch_id 0
		.amdhsa_user_sgpr_flat_scratch_init 0
		.amdhsa_user_sgpr_kernarg_preload_length 0
		.amdhsa_user_sgpr_kernarg_preload_offset 0
		.amdhsa_user_sgpr_private_segment_size 0
		.amdhsa_uses_dynamic_stack 0
		.amdhsa_system_sgpr_private_segment_wavefront_offset 0
		.amdhsa_system_sgpr_workgroup_id_x 1
		.amdhsa_system_sgpr_workgroup_id_y 0
		.amdhsa_system_sgpr_workgroup_id_z 0
		.amdhsa_system_sgpr_workgroup_info 0
		.amdhsa_system_vgpr_workitem_id 0
		.amdhsa_next_free_vgpr 36
		.amdhsa_next_free_sgpr 28
		.amdhsa_accum_offset 36
		.amdhsa_reserve_vcc 1
		.amdhsa_reserve_flat_scratch 0
		.amdhsa_float_round_mode_32 0
		.amdhsa_float_round_mode_16_64 0
		.amdhsa_float_denorm_mode_32 3
		.amdhsa_float_denorm_mode_16_64 3
		.amdhsa_dx10_clamp 1
		.amdhsa_ieee_mode 1
		.amdhsa_fp16_overflow 0
		.amdhsa_tg_split 0
		.amdhsa_exception_fp_ieee_invalid_op 0
		.amdhsa_exception_fp_denorm_src 0
		.amdhsa_exception_fp_ieee_div_zero 0
		.amdhsa_exception_fp_ieee_overflow 0
		.amdhsa_exception_fp_ieee_underflow 0
		.amdhsa_exception_fp_ieee_inexact 0
		.amdhsa_exception_int_div_zero 0
	.end_amdhsa_kernel
	.text
.Lfunc_end1:
	.size	_Z33kernel_cg_group_partition_shfl_upPiji, .Lfunc_end1-_Z33kernel_cg_group_partition_shfl_upPiji
                                        ; -- End function
	.section	.AMDGPU.csdata,"",@progbits
; Kernel info:
; codeLenInByte = 8764
; NumSgprs: 32
; NumVgprs: 36
; NumAgprs: 0
; TotalNumVgprs: 36
; ScratchSize: 0
; MemoryBound: 0
; FloatMode: 240
; IeeeMode: 1
; LDSByteSize: 0 bytes/workgroup (compile time only)
; SGPRBlocks: 3
; VGPRBlocks: 4
; NumSGPRsForWavesPerEU: 32
; NumVGPRsForWavesPerEU: 36
; AccumOffset: 36
; Occupancy: 8
; WaveLimiterHint : 1
; COMPUTE_PGM_RSRC2:SCRATCH_EN: 0
; COMPUTE_PGM_RSRC2:USER_SGPR: 6
; COMPUTE_PGM_RSRC2:TRAP_HANDLER: 0
; COMPUTE_PGM_RSRC2:TGID_X_EN: 1
; COMPUTE_PGM_RSRC2:TGID_Y_EN: 0
; COMPUTE_PGM_RSRC2:TGID_Z_EN: 0
; COMPUTE_PGM_RSRC2:TIDIG_COMP_CNT: 0
; COMPUTE_PGM_RSRC3_GFX90A:ACCUM_OFFSET: 8
; COMPUTE_PGM_RSRC3_GFX90A:TG_SPLIT: 0
	.text
	.p2alignl 6, 3212836864
	.fill 256, 4, 3212836864
	.type	.str,@object                    ; @.str
	.section	.rodata.str1.1,"aMS",@progbits,1
.str:
	.asciz	" Creating %d groups, of tile size %d threads:\n\n"
	.size	.str, 48

	.type	__hip_cuid_4bdcd2eb00a7940d,@object ; @__hip_cuid_4bdcd2eb00a7940d
	.section	.bss,"aw",@nobits
	.globl	__hip_cuid_4bdcd2eb00a7940d
__hip_cuid_4bdcd2eb00a7940d:
	.byte	0                               ; 0x0
	.size	__hip_cuid_4bdcd2eb00a7940d, 1

	.ident	"AMD clang version 19.0.0git (https://github.com/RadeonOpenCompute/llvm-project roc-6.4.0 25133 c7fe45cf4b819c5991fe208aaa96edf142730f1d)"
	.section	".note.GNU-stack","",@progbits
	.addrsig
	.addrsig_sym __hip_cuid_4bdcd2eb00a7940d
	.amdgpu_metadata
---
amdhsa.kernels:
  - .agpr_count:     0
    .args:
      - .address_space:  global
        .offset:         0
        .size:           8
        .value_kind:     global_buffer
      - .address_space:  global
        .offset:         8
        .size:           8
        .value_kind:     global_buffer
      - .offset:         16
        .size:           4
        .value_kind:     by_value
      - .offset:         20
        .size:           4
        .value_kind:     by_value
      - .offset:         24
        .size:           4
        .value_kind:     by_value
      - .offset:         32
        .size:           4
        .value_kind:     hidden_block_count_x
      - .offset:         36
        .size:           4
        .value_kind:     hidden_block_count_y
      - .offset:         40
        .size:           4
        .value_kind:     hidden_block_count_z
      - .offset:         44
        .size:           2
        .value_kind:     hidden_group_size_x
      - .offset:         46
        .size:           2
        .value_kind:     hidden_group_size_y
      - .offset:         48
        .size:           2
        .value_kind:     hidden_group_size_z
      - .offset:         50
        .size:           2
        .value_kind:     hidden_remainder_x
      - .offset:         52
        .size:           2
        .value_kind:     hidden_remainder_y
      - .offset:         54
        .size:           2
        .value_kind:     hidden_remainder_z
      - .offset:         72
        .size:           8
        .value_kind:     hidden_global_offset_x
      - .offset:         80
        .size:           8
        .value_kind:     hidden_global_offset_y
      - .offset:         88
        .size:           8
        .value_kind:     hidden_global_offset_z
      - .offset:         96
        .size:           2
        .value_kind:     hidden_grid_dims
    .group_segment_fixed_size: 0
    .kernarg_segment_align: 8
    .kernarg_segment_size: 288
    .language:       OpenCL C
    .language_version:
      - 2
      - 0
    .max_flat_workgroup_size: 1024
    .name:           _Z14kernel_shfl_upPiS_iii
    .private_segment_fixed_size: 0
    .sgpr_count:     14
    .sgpr_spill_count: 0
    .symbol:         _Z14kernel_shfl_upPiS_iii.kd
    .uniform_work_group_size: 1
    .uses_dynamic_stack: false
    .vgpr_count:     9
    .vgpr_spill_count: 0
    .wavefront_size: 64
  - .agpr_count:     0
    .args:
      - .address_space:  global
        .offset:         0
        .size:           8
        .value_kind:     global_buffer
      - .offset:         8
        .size:           4
        .value_kind:     by_value
      - .offset:         12
        .size:           4
        .value_kind:     by_value
      - .offset:         16
        .size:           4
        .value_kind:     hidden_block_count_x
      - .offset:         20
        .size:           4
        .value_kind:     hidden_block_count_y
      - .offset:         24
        .size:           4
        .value_kind:     hidden_block_count_z
      - .offset:         28
        .size:           2
        .value_kind:     hidden_group_size_x
      - .offset:         30
        .size:           2
        .value_kind:     hidden_group_size_y
      - .offset:         32
        .size:           2
        .value_kind:     hidden_group_size_z
      - .offset:         34
        .size:           2
        .value_kind:     hidden_remainder_x
      - .offset:         36
        .size:           2
        .value_kind:     hidden_remainder_y
      - .offset:         38
        .size:           2
        .value_kind:     hidden_remainder_z
      - .offset:         56
        .size:           8
        .value_kind:     hidden_global_offset_x
      - .offset:         64
        .size:           8
        .value_kind:     hidden_global_offset_y
      - .offset:         72
        .size:           8
        .value_kind:     hidden_global_offset_z
      - .offset:         80
        .size:           2
        .value_kind:     hidden_grid_dims
      - .offset:         96
        .size:           8
        .value_kind:     hidden_hostcall_buffer
    .group_segment_fixed_size: 0
    .kernarg_segment_align: 8
    .kernarg_segment_size: 272
    .language:       OpenCL C
    .language_version:
      - 2
      - 0
    .max_flat_workgroup_size: 1024
    .name:           _Z33kernel_cg_group_partition_shfl_upPiji
    .private_segment_fixed_size: 0
    .sgpr_count:     32
    .sgpr_spill_count: 0
    .symbol:         _Z33kernel_cg_group_partition_shfl_upPiji.kd
    .uniform_work_group_size: 1
    .uses_dynamic_stack: false
    .vgpr_count:     36
    .vgpr_spill_count: 0
    .wavefront_size: 64
amdhsa.target:   amdgcn-amd-amdhsa--gfx90a
amdhsa.version:
  - 1
  - 2
...

	.end_amdgpu_metadata
